;; amdgpu-corpus repo=ROCm/rocSPARSE kind=compiled arch=gfx1030 opt=O3
	.amdgcn_target "amdgcn-amd-amdhsa--gfx1030"
	.amdhsa_code_object_version 6
	.section	.text._ZN9rocsparseL30bellmm_general_blockdim_kernelILi32ELi32EiiiiiEEv20rocsparse_operation_S1_20rocsparse_direction_T2_S3_NS_24const_host_device_scalarIT1_EES3_S3_PKS3_PKT3_PKT4_l16rocsparse_order_S6_PT5_lSF_21rocsparse_index_base_b,"axG",@progbits,_ZN9rocsparseL30bellmm_general_blockdim_kernelILi32ELi32EiiiiiEEv20rocsparse_operation_S1_20rocsparse_direction_T2_S3_NS_24const_host_device_scalarIT1_EES3_S3_PKS3_PKT3_PKT4_l16rocsparse_order_S6_PT5_lSF_21rocsparse_index_base_b,comdat
	.globl	_ZN9rocsparseL30bellmm_general_blockdim_kernelILi32ELi32EiiiiiEEv20rocsparse_operation_S1_20rocsparse_direction_T2_S3_NS_24const_host_device_scalarIT1_EES3_S3_PKS3_PKT3_PKT4_l16rocsparse_order_S6_PT5_lSF_21rocsparse_index_base_b ; -- Begin function _ZN9rocsparseL30bellmm_general_blockdim_kernelILi32ELi32EiiiiiEEv20rocsparse_operation_S1_20rocsparse_direction_T2_S3_NS_24const_host_device_scalarIT1_EES3_S3_PKS3_PKT3_PKT4_l16rocsparse_order_S6_PT5_lSF_21rocsparse_index_base_b
	.p2align	8
	.type	_ZN9rocsparseL30bellmm_general_blockdim_kernelILi32ELi32EiiiiiEEv20rocsparse_operation_S1_20rocsparse_direction_T2_S3_NS_24const_host_device_scalarIT1_EES3_S3_PKS3_PKT3_PKT4_l16rocsparse_order_S6_PT5_lSF_21rocsparse_index_base_b,@function
_ZN9rocsparseL30bellmm_general_blockdim_kernelILi32ELi32EiiiiiEEv20rocsparse_operation_S1_20rocsparse_direction_T2_S3_NS_24const_host_device_scalarIT1_EES3_S3_PKS3_PKT3_PKT4_l16rocsparse_order_S6_PT5_lSF_21rocsparse_index_base_b: ; @_ZN9rocsparseL30bellmm_general_blockdim_kernelILi32ELi32EiiiiiEEv20rocsparse_operation_S1_20rocsparse_direction_T2_S3_NS_24const_host_device_scalarIT1_EES3_S3_PKS3_PKT3_PKT4_l16rocsparse_order_S6_PT5_lSF_21rocsparse_index_base_b
; %bb.0:
	s_clause 0x1
	s_load_dwordx4 s[16:19], s[4:5], 0x68
	s_load_dwordx2 s[2:3], s[4:5], 0x18
	s_mov_b32 s9, -1
                                        ; implicit-def: $sgpr24
	s_waitcnt lgkmcnt(0)
	s_bitcmp1_b32 s18, 0
	s_cselect_b32 s0, -1, 0
	s_xor_b32 s8, s0, -1
	s_and_b32 vcc_lo, exec_lo, s8
	s_cbranch_vccnz .LBB0_4
; %bb.1:
	s_load_dwordx2 s[0:1], s[4:5], 0x50
	s_andn2_b32 vcc_lo, exec_lo, s9
	s_cbranch_vccz .LBB0_5
.LBB0_2:
	s_and_b32 vcc_lo, exec_lo, s8
	s_cbranch_vccz .LBB0_6
.LBB0_3:
	s_waitcnt lgkmcnt(0)
	s_load_dword s25, s[0:1], 0x0
	s_cbranch_execz .LBB0_7
	s_branch .LBB0_8
.LBB0_4:
	s_load_dword s24, s[2:3], 0x0
	s_load_dwordx2 s[0:1], s[4:5], 0x50
	s_cbranch_execnz .LBB0_2
.LBB0_5:
	s_waitcnt lgkmcnt(0)
	s_mov_b32 s24, s2
	s_and_b32 vcc_lo, exec_lo, s8
	s_cbranch_vccnz .LBB0_3
.LBB0_6:
	s_waitcnt lgkmcnt(0)
                                        ; implicit-def: $sgpr25
.LBB0_7:
	s_waitcnt lgkmcnt(0)
	s_mov_b32 s25, s0
.LBB0_8:
	s_cmp_eq_u32 s24, 0
	s_mov_b32 s26, 0
	s_cselect_b32 s0, -1, 0
	s_waitcnt lgkmcnt(0)
	s_cmp_eq_u32 s25, 1
	s_cselect_b32 s1, -1, 0
	s_and_b32 s0, s0, s1
	s_and_b32 vcc_lo, exec_lo, s0
	s_cbranch_vccnz .LBB0_48
; %bb.9:
	s_clause 0x1
	s_load_dwordx4 s[0:3], s[4:5], 0x4
	s_load_dwordx2 s[18:19], s[4:5], 0x20
	s_waitcnt lgkmcnt(0)
	s_cmp_lt_i32 s6, s2
	s_cselect_b32 s27, -1, 0
	s_cmp_ge_i32 s6, s2
	s_cbranch_scc1 .LBB0_11
; %bb.10:
	s_abs_i32 s8, s19
	s_abs_i32 s11, s18
	v_cvt_f32_u32_e32 v2, s8
	s_sub_i32 s10, 0, s8
	v_rcp_iflag_f32_e32 v2, v2
	v_mul_f32_e32 v2, 0x4f7ffffe, v2
	v_cvt_u32_f32_e32 v2, v2
	v_readfirstlane_b32 s9, v2
	s_mul_i32 s10, s10, s9
	s_mul_hi_u32 s10, s9, s10
	s_add_i32 s9, s9, s10
	s_xor_b32 s10, s18, s19
	s_mul_hi_u32 s9, s11, s9
	s_ashr_i32 s10, s10, 31
	s_mul_i32 s12, s9, s8
	s_sub_i32 s11, s11, s12
	s_add_i32 s12, s9, 1
	s_sub_i32 s13, s11, s8
	s_cmp_ge_u32 s11, s8
	s_cselect_b32 s9, s12, s9
	s_cselect_b32 s11, s13, s11
	s_add_i32 s12, s9, 1
	s_cmp_ge_u32 s11, s8
	s_cselect_b32 s8, s12, s9
	s_xor_b32 s8, s8, s10
	s_sub_i32 s26, s8, s10
.LBB0_11:
	s_cmp_lt_i32 s19, 1
	s_cbranch_scc1 .LBB0_48
; %bb.12:
	s_load_dwordx8 s[8:15], s[4:5], 0x28
	v_lshl_add_u32 v2, s7, 5, v1
	s_clause 0x1
	s_load_dwordx4 s[20:23], s[4:5], 0x58
	s_load_dword s18, s[4:5], 0x48
	s_cmp_gt_i32 s26, 0
	s_mul_i32 s4, s19, s6
	v_lshlrev_b32_e32 v12, 2, v0
	v_ashrrev_i32_e32 v3, 31, v2
	s_cselect_b32 s7, -1, 0
	s_cmpk_eq_i32 s0, 0x6f
	v_cmp_gt_i32_e64 s0, s3, v2
	s_cselect_b32 s28, -1, 0
	v_lshlrev_b64 v[4:5], 2, v[2:3]
	v_lshlrev_b32_e32 v13, 7, v1
	v_or_b32_e32 v8, 0x1000, v12
	v_add_nc_u32_e32 v21, 0x400, v12
	v_add_nc_u32_e32 v22, 0x800, v12
	;; [unrolled: 1-line block ×5, first 2 shown]
	s_mov_b32 s5, 0
	s_waitcnt lgkmcnt(0)
	v_mul_lo_u32 v9, s14, v3
	v_mul_lo_u32 v10, s15, v2
	v_mad_u64_u32 v[6:7], null, s14, v2, 0
	v_add_co_u32 v14, vcc_lo, s12, v4
	v_add_co_ci_u32_e64 v15, null, s13, v5, vcc_lo
	s_cmp_lg_u32 s18, 1
	v_mul_lo_u32 v11, s22, v3
	v_add3_u32 v7, v7, v9, v10
	v_mul_lo_u32 v9, s23, v2
	v_mad_u64_u32 v[4:5], null, s22, v2, 0
	s_cselect_b32 s18, -1, 0
	v_lshlrev_b64 v[6:7], 2, v[6:7]
	s_cmp_lg_u32 s1, 0
	s_cselect_b32 s3, -1, 0
	s_cmp_lg_u32 s16, 1
	v_add3_u32 v5, v5, v11, v9
	v_add_co_u32 v16, vcc_lo, s12, v6
	v_add_nc_u32_e32 v6, s4, v1
	s_cselect_b32 s16, -1, 0
	s_and_b32 s12, s27, s0
	s_cmp_lg_u32 s25, 0
	v_add_co_ci_u32_e64 v17, null, s13, v7, vcc_lo
	v_mul_lo_u32 v18, s19, v6
	v_mov_b32_e32 v7, 0
	s_cselect_b32 s13, -1, 0
	s_xor_b32 s1, s28, s18
	s_mul_i32 s27, s19, s19
	s_xor_b32 s18, s1, -1
	s_mul_i32 s27, s27, s2
	s_lshl_b32 s28, s19, 5
	s_branch .LBB0_14
.LBB0_13:                               ;   in Loop: Header=BB0_14 Depth=1
	s_or_b32 exec_lo, exec_lo, s1
	v_add_nc_u32_e32 v18, 32, v18
	s_add_i32 s5, s5, 32
	s_cmp_lt_i32 s5, s19
	s_cbranch_scc0 .LBB0_48
.LBB0_14:                               ; =>This Loop Header: Depth=1
                                        ;     Child Loop BB0_17 Depth 2
                                        ;       Child Loop BB0_19 Depth 3
	v_add_nc_u32_e32 v8, s5, v0
	v_mov_b32_e32 v25, v7
	s_andn2_b32 vcc_lo, exec_lo, s7
	v_cmp_gt_i32_e64 s1, s19, v8
	s_cbranch_vccnz .LBB0_39
; %bb.15:                               ;   in Loop: Header=BB0_14 Depth=1
	v_mov_b32_e32 v25, 0
	v_mov_b32_e32 v24, v18
	s_mov_b32 s29, 0
	s_branch .LBB0_17
.LBB0_16:                               ;   in Loop: Header=BB0_17 Depth=2
	v_add_nc_u32_e32 v24, s27, v24
	s_add_i32 s29, s29, 1
	s_cmp_eq_u32 s29, s26
	s_cbranch_scc1 .LBB0_39
.LBB0_17:                               ;   Parent Loop BB0_14 Depth=1
                                        ; =>  This Loop Header: Depth=2
                                        ;       Child Loop BB0_19 Depth 3
	s_mul_i32 s30, s29, s2
	v_add_nc_u32_e32 v27, v0, v24
	s_add_i32 s30, s30, s6
	s_mov_b32 s33, 0
	s_ashr_i32 s31, s30, 31
	v_mad_u64_u32 v[9:10], null, s30, s19, v[8:9]
	s_lshl_b64 s[34:35], s[30:31], 2
	s_add_u32 s34, s8, s34
	s_addc_u32 s35, s9, s35
	s_load_dword s31, s[34:35], 0x0
	v_mul_lo_u32 v26, v9, s19
	s_waitcnt lgkmcnt(0)
	s_sub_i32 s30, s31, s17
	s_mov_b32 s31, 0
	v_mad_u64_u32 v[9:10], null, s30, s19, v[0:1]
	s_cmp_gt_i32 s30, -1
	s_cselect_b32 s30, -1, 0
	s_branch .LBB0_19
.LBB0_18:                               ;   in Loop: Header=BB0_19 Depth=3
	s_add_i32 s33, s33, 32
	s_add_i32 s31, s31, s28
	s_cmp_ge_i32 s33, s19
	s_barrier
	buffer_gl0_inv
	s_cbranch_scc1 .LBB0_16
.LBB0_19:                               ;   Parent Loop BB0_14 Depth=1
                                        ;     Parent Loop BB0_17 Depth=2
                                        ; =>    This Inner Loop Header: Depth=3
	v_add_nc_u32_e32 v6, s33, v0
	s_mov_b32 s35, -1
                                        ; implicit-def: $vgpr10
	v_cmp_gt_i32_e32 vcc_lo, s19, v6
	s_and_b32 s34, s0, vcc_lo
	s_and_b32 vcc_lo, exec_lo, s18
	s_and_b32 s34, s34, s30
	s_cbranch_vccz .LBB0_23
; %bb.20:                               ;   in Loop: Header=BB0_19 Depth=3
	v_mov_b32_e32 v10, 0
	s_and_saveexec_b32 s35, s34
	s_cbranch_execz .LBB0_22
; %bb.21:                               ;   in Loop: Header=BB0_19 Depth=3
	v_add_nc_u32_e32 v28, s33, v9
	v_mad_u64_u32 v[10:11], null, s14, v28, 0
	v_mov_b32_e32 v6, v11
	v_mad_u64_u32 v[28:29], null, s15, v28, v[6:7]
	v_mov_b32_e32 v11, v28
	v_lshlrev_b64 v[10:11], 2, v[10:11]
	v_add_co_u32 v10, vcc_lo, v14, v10
	v_add_co_ci_u32_e64 v11, null, v15, v11, vcc_lo
	global_load_dword v10, v[10:11], off
.LBB0_22:                               ;   in Loop: Header=BB0_19 Depth=3
	s_or_b32 exec_lo, exec_lo, s35
	s_mov_b32 s35, 0
.LBB0_23:                               ;   in Loop: Header=BB0_19 Depth=3
	s_andn2_b32 vcc_lo, exec_lo, s35
	s_cbranch_vccnz .LBB0_27
; %bb.24:                               ;   in Loop: Header=BB0_19 Depth=3
	s_waitcnt vmcnt(0)
	v_mov_b32_e32 v10, 0
	s_and_saveexec_b32 s35, s34
	s_cbranch_execz .LBB0_26
; %bb.25:                               ;   in Loop: Header=BB0_19 Depth=3
	v_add_nc_u32_e32 v6, s33, v9
	v_lshlrev_b64 v[10:11], 2, v[6:7]
	v_add_co_u32 v10, vcc_lo, v16, v10
	v_add_co_ci_u32_e64 v11, null, v17, v11, vcc_lo
	global_load_dword v10, v[10:11], off
.LBB0_26:                               ;   in Loop: Header=BB0_19 Depth=3
	s_or_b32 exec_lo, exec_lo, s35
.LBB0_27:                               ;   in Loop: Header=BB0_19 Depth=3
	v_add_nc_u32_e32 v6, s33, v1
	s_waitcnt vmcnt(0)
	ds_write_b32 v19, v10
	v_cmp_gt_i32_e32 vcc_lo, s19, v6
	s_and_b32 s34, s1, vcc_lo
	s_and_b32 vcc_lo, exec_lo, s3
	s_and_b32 s35, s34, s30
	s_cbranch_vccz .LBB0_35
; %bb.28:                               ;   in Loop: Header=BB0_19 Depth=3
	s_mov_b32 s36, 0
	s_mov_b32 s34, 0
                                        ; implicit-def: $vgpr10
	s_and_saveexec_b32 s37, s35
	s_xor_b32 s37, exec_lo, s37
; %bb.29:                               ;   in Loop: Header=BB0_19 Depth=3
	s_mov_b32 s34, exec_lo
	v_add_nc_u32_e32 v10, s31, v27
; %bb.30:                               ;   in Loop: Header=BB0_19 Depth=3
	s_or_b32 exec_lo, exec_lo, s37
	s_and_b32 vcc_lo, exec_lo, s36
	s_cbranch_vccnz .LBB0_36
.LBB0_31:                               ;   in Loop: Header=BB0_19 Depth=3
	v_mov_b32_e32 v6, 0
	s_and_saveexec_b32 s35, s34
	s_cbranch_execz .LBB0_33
.LBB0_32:                               ;   in Loop: Header=BB0_19 Depth=3
	v_ashrrev_i32_e32 v11, 31, v10
	v_lshlrev_b64 v[10:11], 2, v[10:11]
	v_add_co_u32 v10, vcc_lo, s10, v10
	v_add_co_ci_u32_e64 v11, null, s11, v11, vcc_lo
	global_load_dword v6, v[10:11], off
.LBB0_33:                               ;   in Loop: Header=BB0_19 Depth=3
	s_or_b32 exec_lo, exec_lo, s35
	s_andn2_b32 vcc_lo, exec_lo, s30
	s_waitcnt vmcnt(0)
	ds_write_b32 v20, v6
	s_waitcnt lgkmcnt(0)
	s_barrier
	buffer_gl0_inv
	s_cbranch_vccnz .LBB0_18
; %bb.34:                               ;   in Loop: Header=BB0_19 Depth=3
	ds_read2_b32 v[10:11], v12 offset1:32
	ds_read_b128 v[28:31], v13 offset:4096
	ds_read2_b32 v[40:41], v12 offset0:64 offset1:96
	ds_read_b128 v[32:35], v13 offset:4112
	ds_read2_b32 v[42:43], v12 offset0:128 offset1:160
	ds_read2_b32 v[44:45], v12 offset0:192 offset1:224
	ds_read_b128 v[36:39], v13 offset:4128
	ds_read2_b32 v[46:47], v21 offset1:32
	s_waitcnt lgkmcnt(6)
	v_mul_lo_u32 v6, v28, v10
	v_mul_lo_u32 v48, v29, v11
	ds_read2_b32 v[10:11], v21 offset0:64 offset1:96
	s_waitcnt lgkmcnt(6)
	v_mul_lo_u32 v49, v30, v40
	v_mul_lo_u32 v50, v31, v41
	ds_read_b128 v[28:31], v13 offset:4144
	ds_read2_b32 v[40:41], v21 offset0:128 offset1:160
	v_add3_u32 v6, v6, v25, v48
	s_waitcnt lgkmcnt(6)
	v_mul_lo_u32 v25, v32, v42
	v_mul_lo_u32 v48, v33, v43
	ds_read2_b32 v[42:43], v21 offset0:192 offset1:224
	v_add3_u32 v6, v6, v49, v50
	s_waitcnt lgkmcnt(6)
	v_mul_lo_u32 v49, v34, v44
	v_mul_lo_u32 v50, v35, v45
	ds_read2_b32 v[44:45], v22 offset1:32
	ds_read_b128 v[32:35], v13 offset:4160
	v_add3_u32 v6, v6, v25, v48
	s_waitcnt lgkmcnt(6)
	v_mul_lo_u32 v25, v36, v46
	v_mul_lo_u32 v48, v37, v47
	ds_read2_b32 v[46:47], v22 offset0:64 offset1:96
	v_add3_u32 v6, v6, v49, v50
	s_waitcnt lgkmcnt(6)
	v_mul_lo_u32 v49, v38, v10
	v_mul_lo_u32 v50, v39, v11
	ds_read2_b32 v[10:11], v22 offset0:128 offset1:160
	ds_read_b128 v[36:39], v13 offset:4176
	v_add3_u32 v6, v6, v25, v48
	s_waitcnt lgkmcnt(6)
	v_mul_lo_u32 v25, v28, v40
	v_mul_lo_u32 v48, v29, v41
	ds_read2_b32 v[40:41], v22 offset0:192 offset1:224
	v_add3_u32 v6, v6, v49, v50
	s_waitcnt lgkmcnt(6)
	v_mul_lo_u32 v49, v30, v42
	v_mul_lo_u32 v50, v31, v43
	ds_read2_b32 v[42:43], v23 offset1:32
	ds_read_b128 v[28:31], v13 offset:4192
	v_add3_u32 v6, v6, v25, v48
	s_waitcnt lgkmcnt(6)
	v_mul_lo_u32 v25, v32, v44
	v_mul_lo_u32 v32, v33, v45
	ds_read2_b32 v[44:45], v23 offset0:64 offset1:96
	s_waitcnt lgkmcnt(6)
	v_mul_lo_u32 v48, v34, v46
	v_add3_u32 v6, v6, v49, v50
	v_mul_lo_u32 v49, v35, v47
	ds_read2_b32 v[46:47], v23 offset0:128 offset1:160
	v_add3_u32 v6, v6, v25, v32
	ds_read_b128 v[32:35], v13 offset:4208
	s_waitcnt lgkmcnt(6)
	v_mul_lo_u32 v25, v36, v10
	v_mul_lo_u32 v36, v37, v11
	s_waitcnt lgkmcnt(5)
	v_mul_lo_u32 v37, v38, v40
	v_add3_u32 v6, v6, v48, v49
	ds_read2_b32 v[10:11], v23 offset0:192 offset1:224
	v_mul_lo_u32 v38, v39, v41
	v_add3_u32 v6, v6, v25, v36
	s_waitcnt lgkmcnt(4)
	v_mul_lo_u32 v25, v28, v42
	v_mul_lo_u32 v28, v29, v43
	s_waitcnt lgkmcnt(3)
	v_mul_lo_u32 v29, v30, v44
	v_mul_lo_u32 v30, v31, v45
	v_add3_u32 v6, v6, v37, v38
	v_add3_u32 v6, v6, v25, v28
	s_waitcnt lgkmcnt(1)
	v_mul_lo_u32 v25, v32, v46
	v_mul_lo_u32 v28, v33, v47
	v_add3_u32 v6, v6, v29, v30
	s_waitcnt lgkmcnt(0)
	v_mul_lo_u32 v10, v34, v10
	v_mul_lo_u32 v11, v35, v11
	v_add3_u32 v6, v6, v25, v28
	v_add3_u32 v25, v6, v10, v11
	s_branch .LBB0_18
.LBB0_35:                               ;   in Loop: Header=BB0_19 Depth=3
	s_mov_b32 s34, 0
                                        ; implicit-def: $vgpr10
	s_cbranch_execz .LBB0_31
.LBB0_36:                               ;   in Loop: Header=BB0_19 Depth=3
                                        ; implicit-def: $vgpr10
	s_and_saveexec_b32 s36, s35
; %bb.37:                               ;   in Loop: Header=BB0_19 Depth=3
	v_add_nc_u32_e32 v10, v6, v26
	s_or_b32 s34, s34, exec_lo
; %bb.38:                               ;   in Loop: Header=BB0_19 Depth=3
	s_or_b32 exec_lo, exec_lo, s36
	v_mov_b32_e32 v6, 0
	s_and_saveexec_b32 s35, s34
	s_cbranch_execnz .LBB0_32
	s_branch .LBB0_33
.LBB0_39:                               ;   in Loop: Header=BB0_14 Depth=1
	v_add_nc_u32_e32 v6, s4, v8
	s_and_b32 vcc_lo, exec_lo, s16
	s_mov_b32 s1, -1
                                        ; implicit-def: $vgpr9_vgpr10
	v_ashrrev_i32_e32 v11, 31, v6
	s_cbranch_vccnz .LBB0_42
; %bb.40:                               ;   in Loop: Header=BB0_14 Depth=1
	s_andn2_b32 vcc_lo, exec_lo, s1
	s_cbranch_vccz .LBB0_43
.LBB0_41:                               ;   in Loop: Header=BB0_14 Depth=1
	v_cmp_gt_i32_e32 vcc_lo, s19, v8
	s_and_b32 s29, s12, vcc_lo
	s_and_saveexec_b32 s1, s29
	s_cbranch_execz .LBB0_13
	s_branch .LBB0_44
.LBB0_42:                               ;   in Loop: Header=BB0_14 Depth=1
	v_mad_u64_u32 v[9:10], null, s22, v6, v[2:3]
	v_mul_lo_u32 v24, s22, v11
	v_mul_lo_u32 v26, s23, v6
	v_add3_u32 v10, v26, v10, v24
	s_cbranch_execnz .LBB0_41
.LBB0_43:                               ;   in Loop: Header=BB0_14 Depth=1
	v_add_co_u32 v9, vcc_lo, v4, v6
	v_add_co_ci_u32_e64 v10, null, v5, v11, vcc_lo
	v_cmp_gt_i32_e32 vcc_lo, s19, v8
	s_and_b32 s29, s12, vcc_lo
	s_and_saveexec_b32 s1, s29
	s_cbranch_execz .LBB0_13
.LBB0_44:                               ;   in Loop: Header=BB0_14 Depth=1
	v_mul_lo_u32 v6, v25, s24
	v_lshlrev_b64 v[8:9], 2, v[9:10]
	s_and_b32 vcc_lo, exec_lo, s13
	s_cbranch_vccz .LBB0_46
; %bb.45:                               ;   in Loop: Header=BB0_14 Depth=1
	v_add_co_u32 v10, vcc_lo, s20, v8
	v_add_co_ci_u32_e64 v11, null, s21, v9, vcc_lo
	global_load_dword v24, v[10:11], off
	s_waitcnt vmcnt(0)
	v_mad_u64_u32 v[24:25], null, v24, s25, v[6:7]
	global_store_dword v[10:11], v24, off
	s_cbranch_execnz .LBB0_13
	s_branch .LBB0_47
.LBB0_46:                               ;   in Loop: Header=BB0_14 Depth=1
.LBB0_47:                               ;   in Loop: Header=BB0_14 Depth=1
	v_add_co_u32 v8, vcc_lo, s20, v8
	v_add_co_ci_u32_e64 v9, null, s21, v9, vcc_lo
	global_store_dword v[8:9], v6, off
	s_branch .LBB0_13
.LBB0_48:
	s_endpgm
	.section	.rodata,"a",@progbits
	.p2align	6, 0x0
	.amdhsa_kernel _ZN9rocsparseL30bellmm_general_blockdim_kernelILi32ELi32EiiiiiEEv20rocsparse_operation_S1_20rocsparse_direction_T2_S3_NS_24const_host_device_scalarIT1_EES3_S3_PKS3_PKT3_PKT4_l16rocsparse_order_S6_PT5_lSF_21rocsparse_index_base_b
		.amdhsa_group_segment_fixed_size 8192
		.amdhsa_private_segment_fixed_size 0
		.amdhsa_kernarg_size 116
		.amdhsa_user_sgpr_count 6
		.amdhsa_user_sgpr_private_segment_buffer 1
		.amdhsa_user_sgpr_dispatch_ptr 0
		.amdhsa_user_sgpr_queue_ptr 0
		.amdhsa_user_sgpr_kernarg_segment_ptr 1
		.amdhsa_user_sgpr_dispatch_id 0
		.amdhsa_user_sgpr_flat_scratch_init 0
		.amdhsa_user_sgpr_private_segment_size 0
		.amdhsa_wavefront_size32 1
		.amdhsa_uses_dynamic_stack 0
		.amdhsa_system_sgpr_private_segment_wavefront_offset 0
		.amdhsa_system_sgpr_workgroup_id_x 1
		.amdhsa_system_sgpr_workgroup_id_y 1
		.amdhsa_system_sgpr_workgroup_id_z 0
		.amdhsa_system_sgpr_workgroup_info 0
		.amdhsa_system_vgpr_workitem_id 1
		.amdhsa_next_free_vgpr 51
		.amdhsa_next_free_sgpr 38
		.amdhsa_reserve_vcc 1
		.amdhsa_reserve_flat_scratch 0
		.amdhsa_float_round_mode_32 0
		.amdhsa_float_round_mode_16_64 0
		.amdhsa_float_denorm_mode_32 3
		.amdhsa_float_denorm_mode_16_64 3
		.amdhsa_dx10_clamp 1
		.amdhsa_ieee_mode 1
		.amdhsa_fp16_overflow 0
		.amdhsa_workgroup_processor_mode 1
		.amdhsa_memory_ordered 1
		.amdhsa_forward_progress 1
		.amdhsa_shared_vgpr_count 0
		.amdhsa_exception_fp_ieee_invalid_op 0
		.amdhsa_exception_fp_denorm_src 0
		.amdhsa_exception_fp_ieee_div_zero 0
		.amdhsa_exception_fp_ieee_overflow 0
		.amdhsa_exception_fp_ieee_underflow 0
		.amdhsa_exception_fp_ieee_inexact 0
		.amdhsa_exception_int_div_zero 0
	.end_amdhsa_kernel
	.section	.text._ZN9rocsparseL30bellmm_general_blockdim_kernelILi32ELi32EiiiiiEEv20rocsparse_operation_S1_20rocsparse_direction_T2_S3_NS_24const_host_device_scalarIT1_EES3_S3_PKS3_PKT3_PKT4_l16rocsparse_order_S6_PT5_lSF_21rocsparse_index_base_b,"axG",@progbits,_ZN9rocsparseL30bellmm_general_blockdim_kernelILi32ELi32EiiiiiEEv20rocsparse_operation_S1_20rocsparse_direction_T2_S3_NS_24const_host_device_scalarIT1_EES3_S3_PKS3_PKT3_PKT4_l16rocsparse_order_S6_PT5_lSF_21rocsparse_index_base_b,comdat
.Lfunc_end0:
	.size	_ZN9rocsparseL30bellmm_general_blockdim_kernelILi32ELi32EiiiiiEEv20rocsparse_operation_S1_20rocsparse_direction_T2_S3_NS_24const_host_device_scalarIT1_EES3_S3_PKS3_PKT3_PKT4_l16rocsparse_order_S6_PT5_lSF_21rocsparse_index_base_b, .Lfunc_end0-_ZN9rocsparseL30bellmm_general_blockdim_kernelILi32ELi32EiiiiiEEv20rocsparse_operation_S1_20rocsparse_direction_T2_S3_NS_24const_host_device_scalarIT1_EES3_S3_PKS3_PKT3_PKT4_l16rocsparse_order_S6_PT5_lSF_21rocsparse_index_base_b
                                        ; -- End function
	.set _ZN9rocsparseL30bellmm_general_blockdim_kernelILi32ELi32EiiiiiEEv20rocsparse_operation_S1_20rocsparse_direction_T2_S3_NS_24const_host_device_scalarIT1_EES3_S3_PKS3_PKT3_PKT4_l16rocsparse_order_S6_PT5_lSF_21rocsparse_index_base_b.num_vgpr, 51
	.set _ZN9rocsparseL30bellmm_general_blockdim_kernelILi32ELi32EiiiiiEEv20rocsparse_operation_S1_20rocsparse_direction_T2_S3_NS_24const_host_device_scalarIT1_EES3_S3_PKS3_PKT3_PKT4_l16rocsparse_order_S6_PT5_lSF_21rocsparse_index_base_b.num_agpr, 0
	.set _ZN9rocsparseL30bellmm_general_blockdim_kernelILi32ELi32EiiiiiEEv20rocsparse_operation_S1_20rocsparse_direction_T2_S3_NS_24const_host_device_scalarIT1_EES3_S3_PKS3_PKT3_PKT4_l16rocsparse_order_S6_PT5_lSF_21rocsparse_index_base_b.numbered_sgpr, 38
	.set _ZN9rocsparseL30bellmm_general_blockdim_kernelILi32ELi32EiiiiiEEv20rocsparse_operation_S1_20rocsparse_direction_T2_S3_NS_24const_host_device_scalarIT1_EES3_S3_PKS3_PKT3_PKT4_l16rocsparse_order_S6_PT5_lSF_21rocsparse_index_base_b.num_named_barrier, 0
	.set _ZN9rocsparseL30bellmm_general_blockdim_kernelILi32ELi32EiiiiiEEv20rocsparse_operation_S1_20rocsparse_direction_T2_S3_NS_24const_host_device_scalarIT1_EES3_S3_PKS3_PKT3_PKT4_l16rocsparse_order_S6_PT5_lSF_21rocsparse_index_base_b.private_seg_size, 0
	.set _ZN9rocsparseL30bellmm_general_blockdim_kernelILi32ELi32EiiiiiEEv20rocsparse_operation_S1_20rocsparse_direction_T2_S3_NS_24const_host_device_scalarIT1_EES3_S3_PKS3_PKT3_PKT4_l16rocsparse_order_S6_PT5_lSF_21rocsparse_index_base_b.uses_vcc, 1
	.set _ZN9rocsparseL30bellmm_general_blockdim_kernelILi32ELi32EiiiiiEEv20rocsparse_operation_S1_20rocsparse_direction_T2_S3_NS_24const_host_device_scalarIT1_EES3_S3_PKS3_PKT3_PKT4_l16rocsparse_order_S6_PT5_lSF_21rocsparse_index_base_b.uses_flat_scratch, 0
	.set _ZN9rocsparseL30bellmm_general_blockdim_kernelILi32ELi32EiiiiiEEv20rocsparse_operation_S1_20rocsparse_direction_T2_S3_NS_24const_host_device_scalarIT1_EES3_S3_PKS3_PKT3_PKT4_l16rocsparse_order_S6_PT5_lSF_21rocsparse_index_base_b.has_dyn_sized_stack, 0
	.set _ZN9rocsparseL30bellmm_general_blockdim_kernelILi32ELi32EiiiiiEEv20rocsparse_operation_S1_20rocsparse_direction_T2_S3_NS_24const_host_device_scalarIT1_EES3_S3_PKS3_PKT3_PKT4_l16rocsparse_order_S6_PT5_lSF_21rocsparse_index_base_b.has_recursion, 0
	.set _ZN9rocsparseL30bellmm_general_blockdim_kernelILi32ELi32EiiiiiEEv20rocsparse_operation_S1_20rocsparse_direction_T2_S3_NS_24const_host_device_scalarIT1_EES3_S3_PKS3_PKT3_PKT4_l16rocsparse_order_S6_PT5_lSF_21rocsparse_index_base_b.has_indirect_call, 0
	.section	.AMDGPU.csdata,"",@progbits
; Kernel info:
; codeLenInByte = 2076
; TotalNumSgprs: 40
; NumVgprs: 51
; ScratchSize: 0
; MemoryBound: 0
; FloatMode: 240
; IeeeMode: 1
; LDSByteSize: 8192 bytes/workgroup (compile time only)
; SGPRBlocks: 0
; VGPRBlocks: 6
; NumSGPRsForWavesPerEU: 40
; NumVGPRsForWavesPerEU: 51
; Occupancy: 16
; WaveLimiterHint : 1
; COMPUTE_PGM_RSRC2:SCRATCH_EN: 0
; COMPUTE_PGM_RSRC2:USER_SGPR: 6
; COMPUTE_PGM_RSRC2:TRAP_HANDLER: 0
; COMPUTE_PGM_RSRC2:TGID_X_EN: 1
; COMPUTE_PGM_RSRC2:TGID_Y_EN: 1
; COMPUTE_PGM_RSRC2:TGID_Z_EN: 0
; COMPUTE_PGM_RSRC2:TIDIG_COMP_CNT: 1
	.section	.text._ZN9rocsparseL30bellmm_general_blockdim_kernelILi32ELi32EiliiiEEv20rocsparse_operation_S1_20rocsparse_direction_T2_S3_NS_24const_host_device_scalarIT1_EES3_S3_PKS3_PKT3_PKT4_l16rocsparse_order_S6_PT5_lSF_21rocsparse_index_base_b,"axG",@progbits,_ZN9rocsparseL30bellmm_general_blockdim_kernelILi32ELi32EiliiiEEv20rocsparse_operation_S1_20rocsparse_direction_T2_S3_NS_24const_host_device_scalarIT1_EES3_S3_PKS3_PKT3_PKT4_l16rocsparse_order_S6_PT5_lSF_21rocsparse_index_base_b,comdat
	.globl	_ZN9rocsparseL30bellmm_general_blockdim_kernelILi32ELi32EiliiiEEv20rocsparse_operation_S1_20rocsparse_direction_T2_S3_NS_24const_host_device_scalarIT1_EES3_S3_PKS3_PKT3_PKT4_l16rocsparse_order_S6_PT5_lSF_21rocsparse_index_base_b ; -- Begin function _ZN9rocsparseL30bellmm_general_blockdim_kernelILi32ELi32EiliiiEEv20rocsparse_operation_S1_20rocsparse_direction_T2_S3_NS_24const_host_device_scalarIT1_EES3_S3_PKS3_PKT3_PKT4_l16rocsparse_order_S6_PT5_lSF_21rocsparse_index_base_b
	.p2align	8
	.type	_ZN9rocsparseL30bellmm_general_blockdim_kernelILi32ELi32EiliiiEEv20rocsparse_operation_S1_20rocsparse_direction_T2_S3_NS_24const_host_device_scalarIT1_EES3_S3_PKS3_PKT3_PKT4_l16rocsparse_order_S6_PT5_lSF_21rocsparse_index_base_b,@function
_ZN9rocsparseL30bellmm_general_blockdim_kernelILi32ELi32EiliiiEEv20rocsparse_operation_S1_20rocsparse_direction_T2_S3_NS_24const_host_device_scalarIT1_EES3_S3_PKS3_PKT3_PKT4_l16rocsparse_order_S6_PT5_lSF_21rocsparse_index_base_b: ; @_ZN9rocsparseL30bellmm_general_blockdim_kernelILi32ELi32EiliiiEEv20rocsparse_operation_S1_20rocsparse_direction_T2_S3_NS_24const_host_device_scalarIT1_EES3_S3_PKS3_PKT3_PKT4_l16rocsparse_order_S6_PT5_lSF_21rocsparse_index_base_b
; %bb.0:
	s_clause 0x1
	s_load_dwordx4 s[24:27], s[4:5], 0x78
	s_load_dwordx8 s[8:15], s[4:5], 0x10
	v_mov_b32_e32 v2, v1
	s_mov_b32 s0, s7
	s_mov_b32 s7, -1
                                        ; implicit-def: $sgpr33
	s_waitcnt lgkmcnt(0)
	s_bitcmp1_b32 s26, 0
	s_cselect_b32 s1, -1, 0
	s_xor_b32 s1, s1, -1
	s_and_b32 vcc_lo, exec_lo, s1
	s_cbranch_vccnz .LBB1_4
; %bb.1:
	s_load_dwordx2 s[2:3], s[4:5], 0x60
	s_andn2_b32 vcc_lo, exec_lo, s7
	s_cbranch_vccz .LBB1_5
.LBB1_2:
	s_and_b32 vcc_lo, exec_lo, s1
	s_cbranch_vccz .LBB1_6
.LBB1_3:
	s_waitcnt lgkmcnt(0)
	s_load_dword s36, s[2:3], 0x0
	s_cbranch_execz .LBB1_7
	s_branch .LBB1_8
.LBB1_4:
	s_load_dword s33, s[12:13], 0x0
	s_load_dwordx2 s[2:3], s[4:5], 0x60
	s_cbranch_execnz .LBB1_2
.LBB1_5:
	s_waitcnt lgkmcnt(0)
	s_mov_b32 s33, s12
	s_and_b32 vcc_lo, exec_lo, s1
	s_cbranch_vccnz .LBB1_3
.LBB1_6:
                                        ; implicit-def: $sgpr36
.LBB1_7:
	s_waitcnt lgkmcnt(0)
	s_mov_b32 s36, s2
.LBB1_8:
	s_waitcnt lgkmcnt(0)
	s_cmp_eq_u32 s33, 0
	s_mov_b32 s7, 0
	s_cselect_b32 s1, -1, 0
	s_cmp_eq_u32 s36, 1
	s_cselect_b32 s2, -1, 0
	s_and_b32 s1, s1, s2
	s_and_b32 vcc_lo, exec_lo, s1
	s_cbranch_vccnz .LBB1_48
; %bb.9:
	s_load_dwordx2 s[2:3], s[4:5], 0x30
	v_cmp_le_i64_e64 s12, s[8:9], s[6:7]
	v_cmp_gt_i64_e64 s1, s[8:9], s[6:7]
	s_mov_b64 s[26:27], 0
	s_and_b32 vcc_lo, exec_lo, s12
	s_cbranch_vccnz .LBB1_13
; %bb.10:
	s_waitcnt lgkmcnt(0)
	s_or_b64 s[12:13], s[14:15], s[2:3]
	s_mov_b32 s12, 0
	s_cmp_lg_u64 s[12:13], 0
	s_cbranch_scc0 .LBB1_49
; %bb.11:
	s_ashr_i32 s16, s3, 31
	s_add_u32 s18, s2, s16
	s_mov_b32 s17, s16
	s_addc_u32 s19, s3, s16
	s_xor_b64 s[18:19], s[18:19], s[16:17]
	v_cvt_f32_u32_e32 v1, s18
	v_cvt_f32_u32_e32 v3, s19
	s_sub_u32 s20, 0, s18
	s_subb_u32 s21, 0, s19
	v_fmamk_f32 v1, v3, 0x4f800000, v1
	v_rcp_f32_e32 v1, v1
	v_mul_f32_e32 v1, 0x5f7ffffc, v1
	v_mul_f32_e32 v3, 0x2f800000, v1
	v_trunc_f32_e32 v3, v3
	v_fmamk_f32 v1, v3, 0xcf800000, v1
	v_cvt_u32_f32_e32 v3, v3
	v_cvt_u32_f32_e32 v1, v1
	v_readfirstlane_b32 s7, v3
	v_readfirstlane_b32 s13, v1
	s_mul_i32 s22, s20, s7
	s_mul_hi_u32 s26, s20, s13
	s_mul_i32 s23, s21, s13
	s_add_i32 s22, s26, s22
	s_mul_i32 s27, s20, s13
	s_add_i32 s22, s22, s23
	s_mul_hi_u32 s26, s13, s27
	s_mul_i32 s29, s13, s22
	s_mul_hi_u32 s28, s7, s27
	s_mul_i32 s23, s7, s27
	s_mul_hi_u32 s27, s13, s22
	s_add_u32 s26, s26, s29
	s_addc_u32 s27, 0, s27
	s_mul_hi_u32 s30, s7, s22
	s_add_u32 s23, s26, s23
	s_mul_i32 s22, s7, s22
	s_addc_u32 s23, s27, s28
	s_addc_u32 s26, s30, 0
	s_add_u32 s22, s23, s22
	s_addc_u32 s23, 0, s26
	s_add_u32 s13, s13, s22
	s_cselect_b32 s22, -1, 0
	s_mul_hi_u32 s26, s20, s13
	s_cmp_lg_u32 s22, 0
	s_mul_i32 s22, s20, s13
	s_addc_u32 s7, s7, s23
	s_mul_i32 s21, s21, s13
	s_mul_i32 s20, s20, s7
	s_mul_hi_u32 s23, s13, s22
	s_add_i32 s20, s26, s20
	s_mul_hi_u32 s26, s7, s22
	s_add_i32 s20, s20, s21
	s_mul_i32 s21, s7, s22
	s_mul_i32 s28, s13, s20
	s_mul_hi_u32 s27, s13, s20
	s_add_u32 s23, s23, s28
	s_addc_u32 s27, 0, s27
	s_mul_hi_u32 s22, s7, s20
	s_add_u32 s21, s23, s21
	s_mul_i32 s20, s7, s20
	s_addc_u32 s21, s27, s26
	s_addc_u32 s22, s22, 0
	s_add_u32 s20, s21, s20
	s_addc_u32 s21, 0, s22
	s_add_u32 s13, s13, s20
	s_cselect_b32 s20, -1, 0
	s_cmp_lg_u32 s20, 0
	s_addc_u32 s7, s7, s21
	s_ashr_i32 s20, s15, 31
	s_add_u32 s22, s14, s20
	s_mov_b32 s21, s20
	s_addc_u32 s23, s15, s20
	s_xor_b64 s[22:23], s[22:23], s[20:21]
	s_mul_i32 s26, s22, s7
	s_mul_hi_u32 s27, s22, s13
	s_mul_hi_u32 s15, s22, s7
	;; [unrolled: 1-line block ×3, first 2 shown]
	s_mul_i32 s13, s23, s13
	s_add_u32 s26, s27, s26
	s_addc_u32 s15, 0, s15
	s_mul_hi_u32 s28, s23, s7
	s_add_u32 s13, s26, s13
	s_mul_i32 s7, s23, s7
	s_addc_u32 s13, s15, s29
	s_addc_u32 s15, s28, 0
	s_add_u32 s7, s13, s7
	s_addc_u32 s13, 0, s15
	s_mul_hi_u32 s15, s18, s7
	s_mul_i32 s26, s18, s13
	s_mul_i32 s27, s19, s7
	s_add_i32 s15, s15, s26
	s_mul_i32 s26, s18, s7
	s_add_i32 s15, s15, s27
	s_sub_i32 s27, s23, s15
	s_sub_u32 s22, s22, s26
	s_cselect_b32 s26, -1, 0
	s_cmp_lg_u32 s26, 0
	s_subb_u32 s27, s27, s19
	s_sub_u32 s28, s22, s18
	s_cselect_b32 s29, -1, 0
	s_cmp_lg_u32 s29, 0
	s_subb_u32 s27, s27, 0
	s_cmp_ge_u32 s27, s19
	s_cselect_b32 s29, -1, 0
	s_cmp_ge_u32 s28, s18
	s_cselect_b32 s28, -1, 0
	s_cmp_eq_u32 s27, s19
	s_cselect_b32 s27, s28, s29
	s_add_u32 s28, s7, 1
	s_addc_u32 s29, s13, 0
	s_add_u32 s30, s7, 2
	s_addc_u32 s31, s13, 0
	s_cmp_lg_u32 s27, 0
	s_cselect_b32 s27, s30, s28
	s_cselect_b32 s28, s31, s29
	s_cmp_lg_u32 s26, 0
	s_subb_u32 s15, s23, s15
	s_cmp_ge_u32 s15, s19
	s_cselect_b32 s23, -1, 0
	s_cmp_ge_u32 s22, s18
	s_cselect_b32 s18, -1, 0
	s_cmp_eq_u32 s15, s19
	s_cselect_b32 s15, s18, s23
	s_cmp_lg_u32 s15, 0
	s_cselect_b32 s19, s28, s13
	s_cselect_b32 s18, s27, s7
	s_xor_b64 s[16:17], s[20:21], s[16:17]
	s_xor_b64 s[18:19], s[18:19], s[16:17]
	s_sub_u32 s26, s18, s16
	s_subb_u32 s27, s19, s17
	s_andn2_b32 vcc_lo, exec_lo, s12
	s_cbranch_vccnz .LBB1_13
.LBB1_12:
	v_cvt_f32_u32_e32 v1, s2
	s_sub_i32 s12, 0, s2
	s_mov_b32 s27, 0
	v_rcp_iflag_f32_e32 v1, v1
	v_mul_f32_e32 v1, 0x4f7ffffe, v1
	v_cvt_u32_f32_e32 v1, v1
	v_readfirstlane_b32 s7, v1
	s_mul_i32 s12, s12, s7
	s_mul_hi_u32 s12, s7, s12
	s_add_i32 s7, s7, s12
	s_mul_hi_u32 s7, s14, s7
	s_mul_i32 s12, s7, s2
	s_add_i32 s13, s7, 1
	s_sub_i32 s12, s14, s12
	s_sub_i32 s14, s12, s2
	s_cmp_ge_u32 s12, s2
	s_cselect_b32 s7, s13, s7
	s_cselect_b32 s12, s14, s12
	s_add_i32 s13, s7, 1
	s_cmp_ge_u32 s12, s2
	s_cselect_b32 s26, s13, s7
.LBB1_13:
	s_waitcnt lgkmcnt(0)
	v_cmp_lt_i64_e64 s7, s[2:3], 1
	s_and_b32 vcc_lo, exec_lo, s7
	s_cbranch_vccnz .LBB1_48
; %bb.14:
	s_clause 0x3
	s_load_dwordx2 s[30:31], s[4:5], 0x4
	s_load_dword s34, s[4:5], 0x58
	s_load_dwordx4 s[20:23], s[4:5], 0x68
	s_load_dwordx8 s[12:19], s[4:5], 0x38
	s_lshl_b32 s0, s0, 5
	s_mul_i32 s5, s3, s6
	v_add_co_u32 v5, s0, s0, v2
	s_mul_hi_u32 s35, s2, s6
	v_add_co_ci_u32_e64 v6, null, 0, 0, s0
	s_add_i32 s5, s35, s5
	s_mov_b32 s7, s25
	v_lshlrev_b32_e32 v3, 2, v0
	v_cmp_gt_i64_e64 s0, s[10:11], v[5:6]
	s_mul_i32 s4, s2, s6
	v_mov_b32_e32 v1, 0
	v_lshlrev_b32_e32 v31, 7, v2
	v_or_b32_e32 v17, 0x1000, v3
	v_cmp_gt_i64_e64 s42, s[26:27], 0
	s_waitcnt lgkmcnt(0)
	s_cmpk_eq_i32 s30, 0x6f
	v_mov_b32_e32 v14, v1
	s_cselect_b32 s25, -1, 0
	s_cmp_lg_u32 s34, 1
	v_mul_lo_u32 v4, s23, v5
	s_cselect_b32 s10, -1, 0
	s_cmp_lg_u32 s31, 0
	v_mul_lo_u32 v11, s22, v6
	v_mad_u64_u32 v[7:8], null, s22, v5, 0
	s_cselect_b32 s37, -1, 0
	s_cmp_lg_u32 s24, 1
	v_mul_lo_u32 v12, s19, v5
	v_mul_lo_u32 v13, s18, v6
	v_mad_u64_u32 v[9:10], null, s18, v5, 0
	s_cselect_b32 s38, -1, 0
	s_and_b32 s39, s1, s0
	s_cmp_lg_u32 s36, 0
	v_add3_u32 v8, v8, v11, v4
	s_cselect_b32 s40, -1, 0
	s_xor_b32 s1, s25, s10
	s_lshl_b64 s[24:25], s[4:5], 2
	v_add3_u32 v10, v10, v13, v12
	v_add_co_u32 v4, s10, s24, v3
	v_add_co_ci_u32_e64 v11, null, s25, 0, s10
	v_lshlrev_b32_e32 v13, 2, v2
	v_mul_lo_u32 v16, s3, v4
	v_lshlrev_b64 v[9:10], 2, v[9:10]
	v_mul_lo_u32 v15, s2, v11
	s_xor_b32 s41, s1, -1
	v_mad_u64_u32 v[11:12], null, s2, v4, v[13:14]
	v_add_co_u32 v13, s24, s24, v13
	v_mov_b32_e32 v4, v1
	v_add_co_ci_u32_e64 v14, null, s25, 0, s24
	v_add_co_u32 v9, vcc_lo, v9, v3
	v_add3_u32 v12, v16, v12, v15
	v_mul_lo_u32 v18, s2, v14
	v_mul_lo_u32 v19, s3, v13
	v_mad_u64_u32 v[15:16], null, s2, v13, v[3:4]
	v_add_co_ci_u32_e64 v10, null, 0, v10, vcc_lo
	v_lshlrev_b64 v[13:14], 2, v[5:6]
	v_add_co_u32 v9, vcc_lo, s16, v9
	s_mul_i32 s1, s2, s3
	s_mul_hi_u32 s30, s2, s2
	v_add_co_ci_u32_e64 v10, null, s17, v10, vcc_lo
	v_add_co_u32 v11, vcc_lo, s14, v11
	s_mul_i32 s34, s2, s2
	s_add_i32 s24, s30, s1
	v_add3_u32 v4, v19, v16, v18
	v_add_co_ci_u32_e64 v12, null, s15, v12, vcc_lo
	v_add_co_u32 v13, vcc_lo, s16, v13
	s_mul_i32 s25, s34, s9
	s_mul_hi_u32 s30, s34, s8
	s_add_i32 s1, s24, s1
	v_add_co_ci_u32_e64 v14, null, s17, v14, vcc_lo
	v_add_co_u32 v15, vcc_lo, s14, v15
	s_add_i32 s30, s30, s25
	s_mul_i32 s1, s1, s8
	v_add_co_ci_u32_e64 v16, null, s15, v4, vcc_lo
	v_add_nc_u32_e32 v32, v17, v31
	v_add_nc_u32_e32 v33, 0x400, v3
	;; [unrolled: 1-line block ×4, first 2 shown]
	s_add_i32 s31, s30, s1
	s_mul_i32 s30, s34, s8
	s_mov_b64 s[28:29], 0
	s_lshl_b64 s[10:11], s[2:3], 2
	s_lshl_b64 s[24:25], s[2:3], 7
	;; [unrolled: 1-line block ×5, first 2 shown]
	s_branch .LBB1_16
.LBB1_15:                               ;   in Loop: Header=BB1_16 Depth=1
	s_or_b32 exec_lo, exec_lo, s1
	s_add_u32 s28, s28, 32
	s_addc_u32 s29, s29, 0
	v_add_co_u32 v11, vcc_lo, v11, s24
	v_cmp_lt_i64_e64 s1, s[28:29], s[2:3]
	v_add_co_ci_u32_e64 v12, null, s25, v12, vcc_lo
	v_add_co_u32 v15, vcc_lo, 0x80, v15
	v_add_co_ci_u32_e64 v16, null, 0, v16, vcc_lo
	s_and_b32 vcc_lo, exec_lo, s1
	s_cbranch_vccz .LBB1_48
.LBB1_16:                               ; =>This Loop Header: Depth=1
                                        ;     Child Loop BB1_19 Depth 2
                                        ;       Child Loop BB1_21 Depth 3
	v_add_co_u32 v17, s1, s28, v0
	v_add_co_ci_u32_e64 v18, null, s29, 0, s1
	v_mov_b32_e32 v4, 0
	s_andn2_b32 vcc_lo, exec_lo, s42
	v_cmp_gt_i64_e64 s1, s[2:3], v[17:18]
	s_cbranch_vccnz .LBB1_39
; %bb.17:                               ;   in Loop: Header=BB1_16 Depth=1
	v_mov_b32_e32 v20, v16
	v_mov_b32_e32 v22, v12
	;; [unrolled: 1-line block ×5, first 2 shown]
	s_mov_b64 s[30:31], 0
	s_branch .LBB1_19
.LBB1_18:                               ;   in Loop: Header=BB1_19 Depth=2
	v_add_co_u32 v21, vcc_lo, v21, s14
	v_add_co_ci_u32_e64 v22, null, s15, v22, vcc_lo
	v_add_co_u32 v19, vcc_lo, v19, s14
	s_add_u32 s30, s30, 1
	v_add_co_ci_u32_e64 v20, null, s15, v20, vcc_lo
	s_addc_u32 s31, s31, 0
	s_cmp_eq_u64 s[30:31], s[26:27]
	s_cbranch_scc1 .LBB1_39
.LBB1_19:                               ;   Parent Loop BB1_16 Depth=1
                                        ; =>  This Loop Header: Depth=2
                                        ;       Child Loop BB1_21 Depth 3
	s_mul_i32 s34, s30, s9
	s_mul_hi_u32 s35, s30, s8
	s_mul_i32 s43, s30, s8
	s_add_i32 s34, s35, s34
	s_mul_i32 s35, s31, s8
	s_add_i32 s35, s34, s35
	s_add_u32 s34, s43, s6
	s_addc_u32 s35, s35, 0
	s_lshl_b64 s[34:35], s[34:35], 3
	s_add_u32 s34, s12, s34
	s_addc_u32 s35, s13, s35
	s_load_dwordx2 s[34:35], s[34:35], 0x0
	s_waitcnt lgkmcnt(0)
	s_sub_u32 s34, s34, s7
	s_subb_u32 s35, s35, 0
	v_mad_u64_u32 v[25:26], null, s34, s2, v[0:1]
	s_mul_i32 s43, s34, s3
	s_mul_i32 s44, s35, s2
	v_mad_u64_u32 v[23:24], null, s10, s34, v[9:10]
	s_mul_i32 s45, s10, s35
	v_add3_u32 v27, s43, s44, v26
	v_mul_lo_u32 v29, s17, v25
	v_mad_u64_u32 v[25:26], null, s16, v25, v[13:14]
	s_mul_i32 s44, s11, s34
	v_mul_lo_u32 v30, s16, v27
	v_mov_b32_e32 v28, v20
	v_cmp_gt_i64_e64 s43, s[34:35], -1
	v_mov_b32_e32 v27, v19
	v_add3_u32 v24, s45, s44, v24
	s_mov_b64 s[34:35], 0
	v_add3_u32 v26, v29, v26, v30
	v_mov_b32_e32 v30, v22
	v_mov_b32_e32 v29, v21
	s_branch .LBB1_21
.LBB1_20:                               ;   in Loop: Header=BB1_21 Depth=3
	v_add_co_u32 v23, vcc_lo, 0x80, v23
	s_add_u32 s34, s34, 32
	v_add_co_ci_u32_e64 v24, null, 0, v24, vcc_lo
	v_add_co_u32 v29, vcc_lo, 0x80, v29
	s_addc_u32 s35, s35, 0
	v_add_co_ci_u32_e64 v30, null, 0, v30, vcc_lo
	v_add_co_u32 v25, vcc_lo, v25, s18
	v_cmp_ge_i64_e64 s44, s[34:35], s[2:3]
	v_add_co_ci_u32_e64 v26, null, s19, v26, vcc_lo
	v_add_co_u32 v27, vcc_lo, v27, s24
	v_add_co_ci_u32_e64 v28, null, s25, v28, vcc_lo
	s_and_b32 vcc_lo, exec_lo, s44
	s_barrier
	buffer_gl0_inv
	s_cbranch_vccnz .LBB1_18
.LBB1_21:                               ;   Parent Loop BB1_16 Depth=1
                                        ;     Parent Loop BB1_19 Depth=2
                                        ; =>    This Inner Loop Header: Depth=3
	v_add_co_u32 v36, s44, v0, s34
	v_add_co_ci_u32_e64 v37, null, 0, s35, s44
	s_mov_b32 s45, -1
	v_cmp_gt_i64_e32 vcc_lo, s[2:3], v[36:37]
                                        ; implicit-def: $vgpr36
	s_and_b32 s44, s0, vcc_lo
	s_and_b32 vcc_lo, exec_lo, s41
	s_and_b32 s44, s44, s43
	s_cbranch_vccz .LBB1_25
; %bb.22:                               ;   in Loop: Header=BB1_21 Depth=3
	v_mov_b32_e32 v36, 0
	s_and_saveexec_b32 s45, s44
	s_cbranch_execz .LBB1_24
; %bb.23:                               ;   in Loop: Header=BB1_21 Depth=3
	global_load_dword v36, v[25:26], off
.LBB1_24:                               ;   in Loop: Header=BB1_21 Depth=3
	s_or_b32 exec_lo, exec_lo, s45
	s_mov_b32 s45, 0
.LBB1_25:                               ;   in Loop: Header=BB1_21 Depth=3
	s_andn2_b32 vcc_lo, exec_lo, s45
	s_cbranch_vccnz .LBB1_29
; %bb.26:                               ;   in Loop: Header=BB1_21 Depth=3
	s_waitcnt vmcnt(0)
	v_mov_b32_e32 v36, 0
	s_and_saveexec_b32 s45, s44
	s_cbranch_execz .LBB1_28
; %bb.27:                               ;   in Loop: Header=BB1_21 Depth=3
	global_load_dword v36, v[23:24], off
.LBB1_28:                               ;   in Loop: Header=BB1_21 Depth=3
	s_or_b32 exec_lo, exec_lo, s45
.LBB1_29:                               ;   in Loop: Header=BB1_21 Depth=3
	v_add_co_u32 v37, s44, v2, s34
	v_add_co_ci_u32_e64 v38, null, 0, s35, s44
	s_waitcnt vmcnt(0)
	ds_write_b32 v32, v36
	v_cmp_gt_i64_e32 vcc_lo, s[2:3], v[37:38]
	s_and_b32 s44, s1, vcc_lo
	s_and_b32 vcc_lo, exec_lo, s37
	s_and_b32 s44, s44, s43
	s_cbranch_vccz .LBB1_33
; %bb.30:                               ;   in Loop: Header=BB1_21 Depth=3
	v_mov_b32_e32 v36, 0
	s_and_saveexec_b32 s45, s44
	s_cbranch_execz .LBB1_32
; %bb.31:                               ;   in Loop: Header=BB1_21 Depth=3
	global_load_dword v36, v[27:28], off
.LBB1_32:                               ;   in Loop: Header=BB1_21 Depth=3
	s_or_b32 exec_lo, exec_lo, s45
	s_cbranch_execz .LBB1_34
	s_branch .LBB1_37
.LBB1_33:                               ;   in Loop: Header=BB1_21 Depth=3
                                        ; implicit-def: $vgpr36
.LBB1_34:                               ;   in Loop: Header=BB1_21 Depth=3
	s_waitcnt vmcnt(0)
	v_mov_b32_e32 v36, 0
	s_and_saveexec_b32 s45, s44
	s_cbranch_execz .LBB1_36
; %bb.35:                               ;   in Loop: Header=BB1_21 Depth=3
	global_load_dword v36, v[29:30], off
.LBB1_36:                               ;   in Loop: Header=BB1_21 Depth=3
	s_or_b32 exec_lo, exec_lo, s45
.LBB1_37:                               ;   in Loop: Header=BB1_21 Depth=3
	v_add_nc_u32_e32 v37, v3, v31
	s_andn2_b32 vcc_lo, exec_lo, s43
	s_waitcnt vmcnt(0)
	ds_write_b32 v37, v36
	s_waitcnt lgkmcnt(0)
	s_barrier
	buffer_gl0_inv
	s_cbranch_vccnz .LBB1_20
; %bb.38:                               ;   in Loop: Header=BB1_21 Depth=3
	ds_read2_b32 v[48:49], v3 offset1:32
	ds_read_b128 v[36:39], v31 offset:4096
	ds_read2_b32 v[50:51], v3 offset0:64 offset1:96
	ds_read_b128 v[40:43], v31 offset:4112
	ds_read2_b32 v[52:53], v3 offset0:128 offset1:160
	ds_read2_b32 v[54:55], v3 offset0:192 offset1:224
	ds_read_b128 v[44:47], v31 offset:4128
	ds_read2_b32 v[56:57], v33 offset1:32
	s_waitcnt lgkmcnt(6)
	v_mul_lo_u32 v58, v36, v48
	v_mul_lo_u32 v59, v37, v49
	ds_read2_b32 v[48:49], v33 offset0:64 offset1:96
	s_waitcnt lgkmcnt(6)
	v_mul_lo_u32 v60, v38, v50
	v_mul_lo_u32 v61, v39, v51
	ds_read_b128 v[36:39], v31 offset:4144
	ds_read2_b32 v[50:51], v33 offset0:128 offset1:160
	v_add3_u32 v4, v58, v4, v59
	s_waitcnt lgkmcnt(6)
	v_mul_lo_u32 v58, v40, v52
	v_mul_lo_u32 v59, v41, v53
	ds_read2_b32 v[52:53], v33 offset0:192 offset1:224
	v_add3_u32 v4, v4, v60, v61
	s_waitcnt lgkmcnt(6)
	v_mul_lo_u32 v60, v42, v54
	v_mul_lo_u32 v61, v43, v55
	ds_read2_b32 v[54:55], v34 offset1:32
	ds_read_b128 v[40:43], v31 offset:4160
	v_add3_u32 v4, v4, v58, v59
	s_waitcnt lgkmcnt(6)
	v_mul_lo_u32 v58, v44, v56
	v_mul_lo_u32 v59, v45, v57
	ds_read2_b32 v[56:57], v34 offset0:64 offset1:96
	v_add3_u32 v4, v4, v60, v61
	s_waitcnt lgkmcnt(6)
	v_mul_lo_u32 v60, v46, v48
	v_mul_lo_u32 v61, v47, v49
	ds_read2_b32 v[48:49], v34 offset0:128 offset1:160
	ds_read_b128 v[44:47], v31 offset:4176
	v_add3_u32 v4, v4, v58, v59
	s_waitcnt lgkmcnt(6)
	v_mul_lo_u32 v58, v36, v50
	v_mul_lo_u32 v59, v37, v51
	ds_read2_b32 v[50:51], v34 offset0:192 offset1:224
	v_add3_u32 v4, v4, v60, v61
	s_waitcnt lgkmcnt(6)
	v_mul_lo_u32 v60, v38, v52
	v_mul_lo_u32 v61, v39, v53
	ds_read2_b32 v[52:53], v35 offset1:32
	ds_read_b128 v[36:39], v31 offset:4192
	s_waitcnt lgkmcnt(6)
	v_mul_lo_u32 v40, v40, v54
	v_add3_u32 v4, v4, v58, v59
	v_mul_lo_u32 v41, v41, v55
	ds_read2_b32 v[54:55], v35 offset0:64 offset1:96
	s_waitcnt lgkmcnt(6)
	v_mul_lo_u32 v58, v42, v56
	v_mul_lo_u32 v59, v43, v57
	v_add3_u32 v4, v4, v60, v61
	ds_read2_b32 v[56:57], v35 offset0:128 offset1:160
	s_waitcnt lgkmcnt(5)
	v_mul_lo_u32 v48, v44, v48
	v_mul_lo_u32 v49, v45, v49
	v_add3_u32 v4, v4, v40, v41
	ds_read_b128 v[40:43], v31 offset:4208
	ds_read2_b32 v[44:45], v35 offset0:192 offset1:224
	s_waitcnt lgkmcnt(6)
	v_mul_lo_u32 v46, v46, v50
	v_mul_lo_u32 v47, v47, v51
	v_add3_u32 v4, v4, v58, v59
	s_waitcnt lgkmcnt(4)
	v_mul_lo_u32 v36, v36, v52
	v_mul_lo_u32 v37, v37, v53
	v_add3_u32 v4, v4, v48, v49
	s_waitcnt lgkmcnt(3)
	v_mul_lo_u32 v38, v38, v54
	v_mul_lo_u32 v39, v39, v55
	v_add3_u32 v4, v4, v46, v47
	v_add3_u32 v4, v4, v36, v37
	s_waitcnt lgkmcnt(1)
	v_mul_lo_u32 v36, v40, v56
	v_mul_lo_u32 v37, v41, v57
	v_add3_u32 v4, v4, v38, v39
	s_waitcnt lgkmcnt(0)
	v_mul_lo_u32 v38, v42, v44
	v_mul_lo_u32 v39, v43, v45
	v_add3_u32 v4, v4, v36, v37
	v_add3_u32 v4, v4, v38, v39
	s_branch .LBB1_20
.LBB1_39:                               ;   in Loop: Header=BB1_16 Depth=1
	v_add_co_u32 v21, vcc_lo, v17, s4
	v_add_co_ci_u32_e64 v22, null, s5, v18, vcc_lo
	s_and_b32 vcc_lo, exec_lo, s38
	s_mov_b32 s1, -1
                                        ; implicit-def: $vgpr19_vgpr20
	s_cbranch_vccnz .LBB1_42
; %bb.40:                               ;   in Loop: Header=BB1_16 Depth=1
	s_andn2_b32 vcc_lo, exec_lo, s1
	s_cbranch_vccz .LBB1_43
.LBB1_41:                               ;   in Loop: Header=BB1_16 Depth=1
	v_cmp_gt_i64_e32 vcc_lo, s[2:3], v[17:18]
	s_and_b32 s30, s39, vcc_lo
	s_and_saveexec_b32 s1, s30
	s_cbranch_execz .LBB1_15
	s_branch .LBB1_44
.LBB1_42:                               ;   in Loop: Header=BB1_16 Depth=1
	v_mad_u64_u32 v[19:20], null, v21, s22, v[5:6]
	v_mul_lo_u32 v23, v21, s23
	v_mul_lo_u32 v24, v22, s22
	v_add3_u32 v20, v24, v20, v23
	s_cbranch_execnz .LBB1_41
.LBB1_43:                               ;   in Loop: Header=BB1_16 Depth=1
	v_add_co_u32 v19, vcc_lo, v21, v7
	v_add_co_ci_u32_e64 v20, null, v22, v8, vcc_lo
	v_cmp_gt_i64_e32 vcc_lo, s[2:3], v[17:18]
	s_and_b32 s30, s39, vcc_lo
	s_and_saveexec_b32 s1, s30
	s_cbranch_execz .LBB1_15
.LBB1_44:                               ;   in Loop: Header=BB1_16 Depth=1
	v_mul_lo_u32 v4, v4, s33
	v_lshlrev_b64 v[17:18], 2, v[19:20]
	s_and_b32 vcc_lo, exec_lo, s40
	s_cbranch_vccz .LBB1_46
; %bb.45:                               ;   in Loop: Header=BB1_16 Depth=1
	v_add_co_u32 v19, vcc_lo, s20, v17
	v_add_co_ci_u32_e64 v20, null, s21, v18, vcc_lo
	global_load_dword v21, v[19:20], off
	s_waitcnt vmcnt(0)
	v_mad_u64_u32 v[21:22], null, v21, s36, v[4:5]
	global_store_dword v[19:20], v21, off
	s_cbranch_execnz .LBB1_15
	s_branch .LBB1_47
.LBB1_46:                               ;   in Loop: Header=BB1_16 Depth=1
.LBB1_47:                               ;   in Loop: Header=BB1_16 Depth=1
	v_add_co_u32 v17, vcc_lo, s20, v17
	v_add_co_ci_u32_e64 v18, null, s21, v18, vcc_lo
	global_store_dword v[17:18], v4, off
	s_branch .LBB1_15
.LBB1_48:
	s_endpgm
.LBB1_49:
                                        ; implicit-def: $sgpr26_sgpr27
	s_branch .LBB1_12
	.section	.rodata,"a",@progbits
	.p2align	6, 0x0
	.amdhsa_kernel _ZN9rocsparseL30bellmm_general_blockdim_kernelILi32ELi32EiliiiEEv20rocsparse_operation_S1_20rocsparse_direction_T2_S3_NS_24const_host_device_scalarIT1_EES3_S3_PKS3_PKT3_PKT4_l16rocsparse_order_S6_PT5_lSF_21rocsparse_index_base_b
		.amdhsa_group_segment_fixed_size 8192
		.amdhsa_private_segment_fixed_size 0
		.amdhsa_kernarg_size 132
		.amdhsa_user_sgpr_count 6
		.amdhsa_user_sgpr_private_segment_buffer 1
		.amdhsa_user_sgpr_dispatch_ptr 0
		.amdhsa_user_sgpr_queue_ptr 0
		.amdhsa_user_sgpr_kernarg_segment_ptr 1
		.amdhsa_user_sgpr_dispatch_id 0
		.amdhsa_user_sgpr_flat_scratch_init 0
		.amdhsa_user_sgpr_private_segment_size 0
		.amdhsa_wavefront_size32 1
		.amdhsa_uses_dynamic_stack 0
		.amdhsa_system_sgpr_private_segment_wavefront_offset 0
		.amdhsa_system_sgpr_workgroup_id_x 1
		.amdhsa_system_sgpr_workgroup_id_y 1
		.amdhsa_system_sgpr_workgroup_id_z 0
		.amdhsa_system_sgpr_workgroup_info 0
		.amdhsa_system_vgpr_workitem_id 1
		.amdhsa_next_free_vgpr 62
		.amdhsa_next_free_sgpr 46
		.amdhsa_reserve_vcc 1
		.amdhsa_reserve_flat_scratch 0
		.amdhsa_float_round_mode_32 0
		.amdhsa_float_round_mode_16_64 0
		.amdhsa_float_denorm_mode_32 3
		.amdhsa_float_denorm_mode_16_64 3
		.amdhsa_dx10_clamp 1
		.amdhsa_ieee_mode 1
		.amdhsa_fp16_overflow 0
		.amdhsa_workgroup_processor_mode 1
		.amdhsa_memory_ordered 1
		.amdhsa_forward_progress 1
		.amdhsa_shared_vgpr_count 0
		.amdhsa_exception_fp_ieee_invalid_op 0
		.amdhsa_exception_fp_denorm_src 0
		.amdhsa_exception_fp_ieee_div_zero 0
		.amdhsa_exception_fp_ieee_overflow 0
		.amdhsa_exception_fp_ieee_underflow 0
		.amdhsa_exception_fp_ieee_inexact 0
		.amdhsa_exception_int_div_zero 0
	.end_amdhsa_kernel
	.section	.text._ZN9rocsparseL30bellmm_general_blockdim_kernelILi32ELi32EiliiiEEv20rocsparse_operation_S1_20rocsparse_direction_T2_S3_NS_24const_host_device_scalarIT1_EES3_S3_PKS3_PKT3_PKT4_l16rocsparse_order_S6_PT5_lSF_21rocsparse_index_base_b,"axG",@progbits,_ZN9rocsparseL30bellmm_general_blockdim_kernelILi32ELi32EiliiiEEv20rocsparse_operation_S1_20rocsparse_direction_T2_S3_NS_24const_host_device_scalarIT1_EES3_S3_PKS3_PKT3_PKT4_l16rocsparse_order_S6_PT5_lSF_21rocsparse_index_base_b,comdat
.Lfunc_end1:
	.size	_ZN9rocsparseL30bellmm_general_blockdim_kernelILi32ELi32EiliiiEEv20rocsparse_operation_S1_20rocsparse_direction_T2_S3_NS_24const_host_device_scalarIT1_EES3_S3_PKS3_PKT3_PKT4_l16rocsparse_order_S6_PT5_lSF_21rocsparse_index_base_b, .Lfunc_end1-_ZN9rocsparseL30bellmm_general_blockdim_kernelILi32ELi32EiliiiEEv20rocsparse_operation_S1_20rocsparse_direction_T2_S3_NS_24const_host_device_scalarIT1_EES3_S3_PKS3_PKT3_PKT4_l16rocsparse_order_S6_PT5_lSF_21rocsparse_index_base_b
                                        ; -- End function
	.set _ZN9rocsparseL30bellmm_general_blockdim_kernelILi32ELi32EiliiiEEv20rocsparse_operation_S1_20rocsparse_direction_T2_S3_NS_24const_host_device_scalarIT1_EES3_S3_PKS3_PKT3_PKT4_l16rocsparse_order_S6_PT5_lSF_21rocsparse_index_base_b.num_vgpr, 62
	.set _ZN9rocsparseL30bellmm_general_blockdim_kernelILi32ELi32EiliiiEEv20rocsparse_operation_S1_20rocsparse_direction_T2_S3_NS_24const_host_device_scalarIT1_EES3_S3_PKS3_PKT3_PKT4_l16rocsparse_order_S6_PT5_lSF_21rocsparse_index_base_b.num_agpr, 0
	.set _ZN9rocsparseL30bellmm_general_blockdim_kernelILi32ELi32EiliiiEEv20rocsparse_operation_S1_20rocsparse_direction_T2_S3_NS_24const_host_device_scalarIT1_EES3_S3_PKS3_PKT3_PKT4_l16rocsparse_order_S6_PT5_lSF_21rocsparse_index_base_b.numbered_sgpr, 46
	.set _ZN9rocsparseL30bellmm_general_blockdim_kernelILi32ELi32EiliiiEEv20rocsparse_operation_S1_20rocsparse_direction_T2_S3_NS_24const_host_device_scalarIT1_EES3_S3_PKS3_PKT3_PKT4_l16rocsparse_order_S6_PT5_lSF_21rocsparse_index_base_b.num_named_barrier, 0
	.set _ZN9rocsparseL30bellmm_general_blockdim_kernelILi32ELi32EiliiiEEv20rocsparse_operation_S1_20rocsparse_direction_T2_S3_NS_24const_host_device_scalarIT1_EES3_S3_PKS3_PKT3_PKT4_l16rocsparse_order_S6_PT5_lSF_21rocsparse_index_base_b.private_seg_size, 0
	.set _ZN9rocsparseL30bellmm_general_blockdim_kernelILi32ELi32EiliiiEEv20rocsparse_operation_S1_20rocsparse_direction_T2_S3_NS_24const_host_device_scalarIT1_EES3_S3_PKS3_PKT3_PKT4_l16rocsparse_order_S6_PT5_lSF_21rocsparse_index_base_b.uses_vcc, 1
	.set _ZN9rocsparseL30bellmm_general_blockdim_kernelILi32ELi32EiliiiEEv20rocsparse_operation_S1_20rocsparse_direction_T2_S3_NS_24const_host_device_scalarIT1_EES3_S3_PKS3_PKT3_PKT4_l16rocsparse_order_S6_PT5_lSF_21rocsparse_index_base_b.uses_flat_scratch, 0
	.set _ZN9rocsparseL30bellmm_general_blockdim_kernelILi32ELi32EiliiiEEv20rocsparse_operation_S1_20rocsparse_direction_T2_S3_NS_24const_host_device_scalarIT1_EES3_S3_PKS3_PKT3_PKT4_l16rocsparse_order_S6_PT5_lSF_21rocsparse_index_base_b.has_dyn_sized_stack, 0
	.set _ZN9rocsparseL30bellmm_general_blockdim_kernelILi32ELi32EiliiiEEv20rocsparse_operation_S1_20rocsparse_direction_T2_S3_NS_24const_host_device_scalarIT1_EES3_S3_PKS3_PKT3_PKT4_l16rocsparse_order_S6_PT5_lSF_21rocsparse_index_base_b.has_recursion, 0
	.set _ZN9rocsparseL30bellmm_general_blockdim_kernelILi32ELi32EiliiiEEv20rocsparse_operation_S1_20rocsparse_direction_T2_S3_NS_24const_host_device_scalarIT1_EES3_S3_PKS3_PKT3_PKT4_l16rocsparse_order_S6_PT5_lSF_21rocsparse_index_base_b.has_indirect_call, 0
	.section	.AMDGPU.csdata,"",@progbits
; Kernel info:
; codeLenInByte = 3016
; TotalNumSgprs: 48
; NumVgprs: 62
; ScratchSize: 0
; MemoryBound: 0
; FloatMode: 240
; IeeeMode: 1
; LDSByteSize: 8192 bytes/workgroup (compile time only)
; SGPRBlocks: 0
; VGPRBlocks: 7
; NumSGPRsForWavesPerEU: 48
; NumVGPRsForWavesPerEU: 62
; Occupancy: 16
; WaveLimiterHint : 1
; COMPUTE_PGM_RSRC2:SCRATCH_EN: 0
; COMPUTE_PGM_RSRC2:USER_SGPR: 6
; COMPUTE_PGM_RSRC2:TRAP_HANDLER: 0
; COMPUTE_PGM_RSRC2:TGID_X_EN: 1
; COMPUTE_PGM_RSRC2:TGID_Y_EN: 1
; COMPUTE_PGM_RSRC2:TGID_Z_EN: 0
; COMPUTE_PGM_RSRC2:TIDIG_COMP_CNT: 1
	.section	.text._ZN9rocsparseL30bellmm_general_blockdim_kernelILi32ELi32EfifffEEv20rocsparse_operation_S1_20rocsparse_direction_T2_S3_NS_24const_host_device_scalarIT1_EES3_S3_PKS3_PKT3_PKT4_l16rocsparse_order_S6_PT5_lSF_21rocsparse_index_base_b,"axG",@progbits,_ZN9rocsparseL30bellmm_general_blockdim_kernelILi32ELi32EfifffEEv20rocsparse_operation_S1_20rocsparse_direction_T2_S3_NS_24const_host_device_scalarIT1_EES3_S3_PKS3_PKT3_PKT4_l16rocsparse_order_S6_PT5_lSF_21rocsparse_index_base_b,comdat
	.globl	_ZN9rocsparseL30bellmm_general_blockdim_kernelILi32ELi32EfifffEEv20rocsparse_operation_S1_20rocsparse_direction_T2_S3_NS_24const_host_device_scalarIT1_EES3_S3_PKS3_PKT3_PKT4_l16rocsparse_order_S6_PT5_lSF_21rocsparse_index_base_b ; -- Begin function _ZN9rocsparseL30bellmm_general_blockdim_kernelILi32ELi32EfifffEEv20rocsparse_operation_S1_20rocsparse_direction_T2_S3_NS_24const_host_device_scalarIT1_EES3_S3_PKS3_PKT3_PKT4_l16rocsparse_order_S6_PT5_lSF_21rocsparse_index_base_b
	.p2align	8
	.type	_ZN9rocsparseL30bellmm_general_blockdim_kernelILi32ELi32EfifffEEv20rocsparse_operation_S1_20rocsparse_direction_T2_S3_NS_24const_host_device_scalarIT1_EES3_S3_PKS3_PKT3_PKT4_l16rocsparse_order_S6_PT5_lSF_21rocsparse_index_base_b,@function
_ZN9rocsparseL30bellmm_general_blockdim_kernelILi32ELi32EfifffEEv20rocsparse_operation_S1_20rocsparse_direction_T2_S3_NS_24const_host_device_scalarIT1_EES3_S3_PKS3_PKT3_PKT4_l16rocsparse_order_S6_PT5_lSF_21rocsparse_index_base_b: ; @_ZN9rocsparseL30bellmm_general_blockdim_kernelILi32ELi32EfifffEEv20rocsparse_operation_S1_20rocsparse_direction_T2_S3_NS_24const_host_device_scalarIT1_EES3_S3_PKS3_PKT3_PKT4_l16rocsparse_order_S6_PT5_lSF_21rocsparse_index_base_b
; %bb.0:
	s_clause 0x2
	s_load_dwordx4 s[16:19], s[4:5], 0x68
	s_load_dwordx2 s[24:25], s[4:5], 0x18
	s_load_dwordx2 s[26:27], s[4:5], 0x50
	s_waitcnt lgkmcnt(0)
	s_bitcmp1_b32 s18, 0
	s_cselect_b32 s0, -1, 0
	s_and_b32 vcc_lo, exec_lo, s0
	s_xor_b32 s0, s0, -1
	s_cbranch_vccnz .LBB2_2
; %bb.1:
	s_load_dword s24, s[24:25], 0x0
.LBB2_2:
	s_andn2_b32 vcc_lo, exec_lo, s0
	s_cbranch_vccnz .LBB2_4
; %bb.3:
	s_load_dword s26, s[26:27], 0x0
.LBB2_4:
	s_waitcnt lgkmcnt(0)
	v_cmp_eq_f32_e64 s0, s24, 0
	v_cmp_eq_f32_e64 s1, s26, 1.0
	s_mov_b32 s25, 0
	s_and_b32 s0, s0, s1
	s_and_b32 vcc_lo, exec_lo, s0
	s_cbranch_vccnz .LBB2_44
; %bb.5:
	s_clause 0x1
	s_load_dwordx4 s[0:3], s[4:5], 0x4
	s_load_dwordx2 s[18:19], s[4:5], 0x20
	s_waitcnt lgkmcnt(0)
	s_cmp_lt_i32 s6, s2
	s_cselect_b32 s27, -1, 0
	s_cmp_ge_i32 s6, s2
	s_cbranch_scc1 .LBB2_7
; %bb.6:
	s_abs_i32 s8, s19
	s_abs_i32 s11, s18
	v_cvt_f32_u32_e32 v2, s8
	s_sub_i32 s10, 0, s8
	v_rcp_iflag_f32_e32 v2, v2
	v_mul_f32_e32 v2, 0x4f7ffffe, v2
	v_cvt_u32_f32_e32 v2, v2
	v_readfirstlane_b32 s9, v2
	s_mul_i32 s10, s10, s9
	s_mul_hi_u32 s10, s9, s10
	s_add_i32 s9, s9, s10
	s_xor_b32 s10, s18, s19
	s_mul_hi_u32 s9, s11, s9
	s_ashr_i32 s10, s10, 31
	s_mul_i32 s12, s9, s8
	s_sub_i32 s11, s11, s12
	s_add_i32 s12, s9, 1
	s_sub_i32 s13, s11, s8
	s_cmp_ge_u32 s11, s8
	s_cselect_b32 s9, s12, s9
	s_cselect_b32 s11, s13, s11
	s_add_i32 s12, s9, 1
	s_cmp_ge_u32 s11, s8
	s_cselect_b32 s8, s12, s9
	s_xor_b32 s8, s8, s10
	s_sub_i32 s25, s8, s10
.LBB2_7:
	s_cmp_lt_i32 s19, 1
	s_cbranch_scc1 .LBB2_44
; %bb.8:
	s_clause 0x2
	s_load_dwordx8 s[8:15], s[4:5], 0x28
	s_load_dword s18, s[4:5], 0x48
	s_load_dwordx4 s[20:23], s[4:5], 0x58
	v_lshl_add_u32 v2, s7, 5, v1
	s_mul_i32 s4, s19, s6
	v_lshlrev_b32_e32 v12, 2, v0
	s_cmp_gt_i32 s25, 0
	v_lshlrev_b32_e32 v13, 7, v1
	v_ashrrev_i32_e32 v3, 31, v2
	s_cselect_b32 s7, -1, 0
	s_cmpk_eq_i32 s0, 0x6f
	v_or_b32_e32 v10, 0x1000, v12
	s_cselect_b32 s28, -1, 0
	v_lshlrev_b64 v[8:9], 2, v[2:3]
	v_cmp_gt_i32_e64 s0, s3, v2
	v_add_nc_u32_e32 v20, v12, v13
	v_add_nc_u32_e32 v19, v10, v13
	;; [unrolled: 1-line block ×5, first 2 shown]
	s_waitcnt lgkmcnt(0)
	v_mul_lo_u32 v4, s14, v3
	v_mul_lo_u32 v5, s15, v2
	v_mad_u64_u32 v[6:7], null, s14, v2, 0
	v_mul_lo_u32 v11, s22, v3
	v_mul_lo_u32 v18, s23, v2
	v_add_co_u32 v14, vcc_lo, s12, v8
	v_add_co_ci_u32_e64 v15, null, s13, v9, vcc_lo
	v_add3_u32 v7, v7, v4, v5
	v_mad_u64_u32 v[4:5], null, s22, v2, 0
	s_cmp_lg_u32 s18, 1
	s_mov_b32 s5, 0
	v_lshlrev_b64 v[6:7], 2, v[6:7]
	s_cselect_b32 s18, -1, 0
	s_cmp_lg_u32 s1, 0
	v_add3_u32 v5, v5, v11, v18
	s_cselect_b32 s3, -1, 0
	v_add_co_u32 v16, vcc_lo, s12, v6
	v_add_nc_u32_e32 v6, s4, v1
	s_cmp_lg_u32 s16, 1
	v_add_co_ci_u32_e64 v17, null, s13, v7, vcc_lo
	v_cmp_neq_f32_e64 s13, s26, 0
	v_mul_lo_u32 v18, s19, v6
	v_mov_b32_e32 v7, 0
	s_cselect_b32 s16, -1, 0
	s_and_b32 s12, s27, s0
	s_xor_b32 s1, s28, s18
	s_mul_i32 s27, s19, s19
	s_xor_b32 s18, s1, -1
	s_mul_i32 s27, s27, s2
	s_lshl_b32 s28, s19, 5
	s_branch .LBB2_10
.LBB2_9:                                ;   in Loop: Header=BB2_10 Depth=1
	s_or_b32 exec_lo, exec_lo, s1
	v_add_nc_u32_e32 v18, 32, v18
	s_add_i32 s5, s5, 32
	s_cmp_lt_i32 s5, s19
	s_cbranch_scc0 .LBB2_44
.LBB2_10:                               ; =>This Loop Header: Depth=1
                                        ;     Child Loop BB2_13 Depth 2
                                        ;       Child Loop BB2_15 Depth 3
	v_add_nc_u32_e32 v8, s5, v0
	v_mov_b32_e32 v24, v7
	s_andn2_b32 vcc_lo, exec_lo, s7
	v_cmp_gt_i32_e64 s1, s19, v8
	s_cbranch_vccnz .LBB2_35
; %bb.11:                               ;   in Loop: Header=BB2_10 Depth=1
	v_mov_b32_e32 v24, 0
	v_mov_b32_e32 v25, v18
	s_mov_b32 s29, 0
	s_branch .LBB2_13
.LBB2_12:                               ;   in Loop: Header=BB2_13 Depth=2
	v_add_nc_u32_e32 v25, s27, v25
	s_add_i32 s29, s29, 1
	s_cmp_eq_u32 s29, s25
	s_cbranch_scc1 .LBB2_35
.LBB2_13:                               ;   Parent Loop BB2_10 Depth=1
                                        ; =>  This Loop Header: Depth=2
                                        ;       Child Loop BB2_15 Depth 3
	s_mul_i32 s30, s29, s2
	v_add_nc_u32_e32 v27, v0, v25
	s_add_i32 s30, s30, s6
	s_mov_b32 s33, 0
	s_ashr_i32 s31, s30, 31
	v_mad_u64_u32 v[9:10], null, s30, s19, v[8:9]
	s_lshl_b64 s[34:35], s[30:31], 2
	s_add_u32 s34, s8, s34
	s_addc_u32 s35, s9, s35
	s_load_dword s31, s[34:35], 0x0
	v_mul_lo_u32 v26, v9, s19
	s_waitcnt lgkmcnt(0)
	s_sub_i32 s30, s31, s17
	s_mov_b32 s31, 0
	v_mad_u64_u32 v[9:10], null, s30, s19, v[0:1]
	s_cmp_gt_i32 s30, -1
	s_cselect_b32 s30, -1, 0
	s_branch .LBB2_15
.LBB2_14:                               ;   in Loop: Header=BB2_15 Depth=3
	s_add_i32 s33, s33, 32
	s_add_i32 s31, s31, s28
	s_cmp_ge_i32 s33, s19
	s_barrier
	buffer_gl0_inv
	s_cbranch_scc1 .LBB2_12
.LBB2_15:                               ;   Parent Loop BB2_10 Depth=1
                                        ;     Parent Loop BB2_13 Depth=2
                                        ; =>    This Inner Loop Header: Depth=3
	v_add_nc_u32_e32 v6, s33, v0
	s_mov_b32 s35, -1
                                        ; implicit-def: $vgpr10
	v_cmp_gt_i32_e32 vcc_lo, s19, v6
	s_and_b32 s34, s0, vcc_lo
	s_and_b32 vcc_lo, exec_lo, s18
	s_and_b32 s34, s34, s30
	s_cbranch_vccz .LBB2_19
; %bb.16:                               ;   in Loop: Header=BB2_15 Depth=3
	v_mov_b32_e32 v10, 0
	s_and_saveexec_b32 s35, s34
	s_cbranch_execz .LBB2_18
; %bb.17:                               ;   in Loop: Header=BB2_15 Depth=3
	v_add_nc_u32_e32 v28, s33, v9
	v_mad_u64_u32 v[10:11], null, s14, v28, 0
	v_mov_b32_e32 v6, v11
	v_mad_u64_u32 v[28:29], null, s15, v28, v[6:7]
	v_mov_b32_e32 v11, v28
	v_lshlrev_b64 v[10:11], 2, v[10:11]
	v_add_co_u32 v10, vcc_lo, v14, v10
	v_add_co_ci_u32_e64 v11, null, v15, v11, vcc_lo
	global_load_dword v10, v[10:11], off
.LBB2_18:                               ;   in Loop: Header=BB2_15 Depth=3
	s_or_b32 exec_lo, exec_lo, s35
	s_mov_b32 s35, 0
.LBB2_19:                               ;   in Loop: Header=BB2_15 Depth=3
	s_andn2_b32 vcc_lo, exec_lo, s35
	s_cbranch_vccnz .LBB2_23
; %bb.20:                               ;   in Loop: Header=BB2_15 Depth=3
	s_waitcnt vmcnt(0)
	v_mov_b32_e32 v10, 0
	s_and_saveexec_b32 s35, s34
	s_cbranch_execz .LBB2_22
; %bb.21:                               ;   in Loop: Header=BB2_15 Depth=3
	v_add_nc_u32_e32 v6, s33, v9
	v_lshlrev_b64 v[10:11], 2, v[6:7]
	v_add_co_u32 v10, vcc_lo, v16, v10
	v_add_co_ci_u32_e64 v11, null, v17, v11, vcc_lo
	global_load_dword v10, v[10:11], off
.LBB2_22:                               ;   in Loop: Header=BB2_15 Depth=3
	s_or_b32 exec_lo, exec_lo, s35
.LBB2_23:                               ;   in Loop: Header=BB2_15 Depth=3
	v_add_nc_u32_e32 v6, s33, v1
	s_waitcnt vmcnt(0)
	ds_write_b32 v19, v10
	v_cmp_gt_i32_e32 vcc_lo, s19, v6
	s_and_b32 s34, s1, vcc_lo
	s_and_b32 vcc_lo, exec_lo, s3
	s_and_b32 s35, s34, s30
	s_cbranch_vccz .LBB2_31
; %bb.24:                               ;   in Loop: Header=BB2_15 Depth=3
	s_mov_b32 s36, 0
	s_mov_b32 s34, 0
                                        ; implicit-def: $vgpr10
	s_and_saveexec_b32 s37, s35
	s_xor_b32 s37, exec_lo, s37
; %bb.25:                               ;   in Loop: Header=BB2_15 Depth=3
	s_mov_b32 s34, exec_lo
	v_add_nc_u32_e32 v10, s31, v27
; %bb.26:                               ;   in Loop: Header=BB2_15 Depth=3
	s_or_b32 exec_lo, exec_lo, s37
	s_and_b32 vcc_lo, exec_lo, s36
	s_cbranch_vccnz .LBB2_32
.LBB2_27:                               ;   in Loop: Header=BB2_15 Depth=3
	v_mov_b32_e32 v6, 0
	s_and_saveexec_b32 s35, s34
	s_cbranch_execz .LBB2_29
.LBB2_28:                               ;   in Loop: Header=BB2_15 Depth=3
	v_ashrrev_i32_e32 v11, 31, v10
	v_lshlrev_b64 v[10:11], 2, v[10:11]
	v_add_co_u32 v10, vcc_lo, s10, v10
	v_add_co_ci_u32_e64 v11, null, s11, v11, vcc_lo
	global_load_dword v6, v[10:11], off
.LBB2_29:                               ;   in Loop: Header=BB2_15 Depth=3
	s_or_b32 exec_lo, exec_lo, s35
	s_andn2_b32 vcc_lo, exec_lo, s30
	s_waitcnt vmcnt(0)
	ds_write_b32 v20, v6
	s_waitcnt lgkmcnt(0)
	s_barrier
	buffer_gl0_inv
	s_cbranch_vccnz .LBB2_14
; %bb.30:                               ;   in Loop: Header=BB2_15 Depth=3
	ds_read2_b32 v[10:11], v12 offset1:32
	ds_read_b128 v[28:31], v13 offset:4096
	ds_read2_b32 v[36:37], v12 offset0:64 offset1:96
	ds_read_b128 v[32:35], v13 offset:4112
	ds_read2_b32 v[38:39], v12 offset0:128 offset1:160
	s_waitcnt lgkmcnt(3)
	v_fmac_f32_e32 v24, v10, v28
	v_fmac_f32_e32 v24, v11, v29
	ds_read2_b32 v[10:11], v12 offset0:192 offset1:224
	s_waitcnt lgkmcnt(3)
	v_fmac_f32_e32 v24, v36, v30
	v_fmac_f32_e32 v24, v37, v31
	ds_read_b128 v[28:31], v13 offset:4128
	ds_read2_b32 v[36:37], v21 offset1:32
	s_waitcnt lgkmcnt(3)
	v_fmac_f32_e32 v24, v38, v32
	v_fmac_f32_e32 v24, v39, v33
	ds_read2_b32 v[38:39], v21 offset0:64 offset1:96
	s_waitcnt lgkmcnt(3)
	v_fmac_f32_e32 v24, v10, v34
	v_fmac_f32_e32 v24, v11, v35
	ds_read_b128 v[32:35], v13 offset:4144
	ds_read2_b32 v[10:11], v21 offset0:128 offset1:160
	s_waitcnt lgkmcnt(3)
	v_fmac_f32_e32 v24, v36, v28
	v_fmac_f32_e32 v24, v37, v29
	ds_read2_b32 v[36:37], v21 offset0:192 offset1:224
	s_waitcnt lgkmcnt(3)
	v_fmac_f32_e32 v24, v38, v30
	v_fmac_f32_e32 v24, v39, v31
	ds_read2_b32 v[38:39], v22 offset1:32
	ds_read_b128 v[28:31], v13 offset:4160
	s_waitcnt lgkmcnt(3)
	v_fmac_f32_e32 v24, v10, v32
	v_fmac_f32_e32 v24, v11, v33
	ds_read2_b32 v[10:11], v22 offset0:64 offset1:96
	s_waitcnt lgkmcnt(3)
	v_fmac_f32_e32 v24, v36, v34
	v_fmac_f32_e32 v24, v37, v35
	ds_read2_b32 v[36:37], v22 offset0:128 offset1:160
	ds_read_b128 v[32:35], v13 offset:4176
	s_waitcnt lgkmcnt(3)
	v_fmac_f32_e32 v24, v38, v28
	v_fmac_f32_e32 v24, v39, v29
	ds_read2_b32 v[38:39], v22 offset0:192 offset1:224
	s_waitcnt lgkmcnt(3)
	v_fmac_f32_e32 v24, v10, v30
	v_fmac_f32_e32 v24, v11, v31
	ds_read2_b32 v[10:11], v23 offset1:32
	ds_read_b128 v[28:31], v13 offset:4192
	s_waitcnt lgkmcnt(3)
	v_fmac_f32_e32 v24, v36, v32
	v_fmac_f32_e32 v24, v37, v33
	ds_read2_b32 v[36:37], v23 offset0:64 offset1:96
	s_waitcnt lgkmcnt(3)
	v_fmac_f32_e32 v24, v38, v34
	v_fmac_f32_e32 v24, v39, v35
	ds_read_b128 v[32:35], v13 offset:4208
	ds_read2_b32 v[38:39], v23 offset0:128 offset1:160
	s_waitcnt lgkmcnt(3)
	v_fmac_f32_e32 v24, v10, v28
	v_fmac_f32_e32 v24, v11, v29
	ds_read2_b32 v[10:11], v23 offset0:192 offset1:224
	s_waitcnt lgkmcnt(3)
	v_fmac_f32_e32 v24, v36, v30
	v_fmac_f32_e32 v24, v37, v31
	s_waitcnt lgkmcnt(1)
	v_fmac_f32_e32 v24, v38, v32
	v_fmac_f32_e32 v24, v39, v33
	;; [unrolled: 3-line block ×3, first 2 shown]
	s_branch .LBB2_14
.LBB2_31:                               ;   in Loop: Header=BB2_15 Depth=3
	s_mov_b32 s34, 0
                                        ; implicit-def: $vgpr10
	s_cbranch_execz .LBB2_27
.LBB2_32:                               ;   in Loop: Header=BB2_15 Depth=3
                                        ; implicit-def: $vgpr10
	s_and_saveexec_b32 s36, s35
; %bb.33:                               ;   in Loop: Header=BB2_15 Depth=3
	v_add_nc_u32_e32 v10, v6, v26
	s_or_b32 s34, s34, exec_lo
; %bb.34:                               ;   in Loop: Header=BB2_15 Depth=3
	s_or_b32 exec_lo, exec_lo, s36
	v_mov_b32_e32 v6, 0
	s_and_saveexec_b32 s35, s34
	s_cbranch_execnz .LBB2_28
	s_branch .LBB2_29
.LBB2_35:                               ;   in Loop: Header=BB2_10 Depth=1
	v_add_nc_u32_e32 v6, s4, v8
	s_and_b32 vcc_lo, exec_lo, s16
	s_mov_b32 s1, -1
                                        ; implicit-def: $vgpr9_vgpr10
	v_ashrrev_i32_e32 v11, 31, v6
	s_cbranch_vccnz .LBB2_38
; %bb.36:                               ;   in Loop: Header=BB2_10 Depth=1
	s_andn2_b32 vcc_lo, exec_lo, s1
	s_cbranch_vccz .LBB2_39
.LBB2_37:                               ;   in Loop: Header=BB2_10 Depth=1
	v_cmp_gt_i32_e32 vcc_lo, s19, v8
	s_and_b32 s29, s12, vcc_lo
	s_and_saveexec_b32 s1, s29
	s_cbranch_execz .LBB2_9
	s_branch .LBB2_40
.LBB2_38:                               ;   in Loop: Header=BB2_10 Depth=1
	v_mad_u64_u32 v[9:10], null, s22, v6, v[2:3]
	v_mul_lo_u32 v25, s22, v11
	v_mul_lo_u32 v26, s23, v6
	v_add3_u32 v10, v26, v10, v25
	s_cbranch_execnz .LBB2_37
.LBB2_39:                               ;   in Loop: Header=BB2_10 Depth=1
	v_add_co_u32 v9, vcc_lo, v4, v6
	v_add_co_ci_u32_e64 v10, null, v5, v11, vcc_lo
	v_cmp_gt_i32_e32 vcc_lo, s19, v8
	s_and_b32 s29, s12, vcc_lo
	s_and_saveexec_b32 s1, s29
	s_cbranch_execz .LBB2_9
.LBB2_40:                               ;   in Loop: Header=BB2_10 Depth=1
	v_lshlrev_b64 v[8:9], 2, v[9:10]
	v_mul_f32_e32 v6, s24, v24
	s_and_b32 vcc_lo, exec_lo, s13
	s_cbranch_vccz .LBB2_42
; %bb.41:                               ;   in Loop: Header=BB2_10 Depth=1
	v_add_co_u32 v10, vcc_lo, s20, v8
	v_add_co_ci_u32_e64 v11, null, s21, v9, vcc_lo
	global_load_dword v24, v[10:11], off
	s_waitcnt vmcnt(0)
	v_fma_f32 v24, s26, v24, v6
	global_store_dword v[10:11], v24, off
	s_cbranch_execnz .LBB2_9
	s_branch .LBB2_43
.LBB2_42:                               ;   in Loop: Header=BB2_10 Depth=1
.LBB2_43:                               ;   in Loop: Header=BB2_10 Depth=1
	v_add_co_u32 v8, vcc_lo, s20, v8
	v_add_co_ci_u32_e64 v9, null, s21, v9, vcc_lo
	global_store_dword v[8:9], v6, off
	s_branch .LBB2_9
.LBB2_44:
	s_endpgm
	.section	.rodata,"a",@progbits
	.p2align	6, 0x0
	.amdhsa_kernel _ZN9rocsparseL30bellmm_general_blockdim_kernelILi32ELi32EfifffEEv20rocsparse_operation_S1_20rocsparse_direction_T2_S3_NS_24const_host_device_scalarIT1_EES3_S3_PKS3_PKT3_PKT4_l16rocsparse_order_S6_PT5_lSF_21rocsparse_index_base_b
		.amdhsa_group_segment_fixed_size 8192
		.amdhsa_private_segment_fixed_size 0
		.amdhsa_kernarg_size 116
		.amdhsa_user_sgpr_count 6
		.amdhsa_user_sgpr_private_segment_buffer 1
		.amdhsa_user_sgpr_dispatch_ptr 0
		.amdhsa_user_sgpr_queue_ptr 0
		.amdhsa_user_sgpr_kernarg_segment_ptr 1
		.amdhsa_user_sgpr_dispatch_id 0
		.amdhsa_user_sgpr_flat_scratch_init 0
		.amdhsa_user_sgpr_private_segment_size 0
		.amdhsa_wavefront_size32 1
		.amdhsa_uses_dynamic_stack 0
		.amdhsa_system_sgpr_private_segment_wavefront_offset 0
		.amdhsa_system_sgpr_workgroup_id_x 1
		.amdhsa_system_sgpr_workgroup_id_y 1
		.amdhsa_system_sgpr_workgroup_id_z 0
		.amdhsa_system_sgpr_workgroup_info 0
		.amdhsa_system_vgpr_workitem_id 1
		.amdhsa_next_free_vgpr 40
		.amdhsa_next_free_sgpr 38
		.amdhsa_reserve_vcc 1
		.amdhsa_reserve_flat_scratch 0
		.amdhsa_float_round_mode_32 0
		.amdhsa_float_round_mode_16_64 0
		.amdhsa_float_denorm_mode_32 3
		.amdhsa_float_denorm_mode_16_64 3
		.amdhsa_dx10_clamp 1
		.amdhsa_ieee_mode 1
		.amdhsa_fp16_overflow 0
		.amdhsa_workgroup_processor_mode 1
		.amdhsa_memory_ordered 1
		.amdhsa_forward_progress 1
		.amdhsa_shared_vgpr_count 0
		.amdhsa_exception_fp_ieee_invalid_op 0
		.amdhsa_exception_fp_denorm_src 0
		.amdhsa_exception_fp_ieee_div_zero 0
		.amdhsa_exception_fp_ieee_overflow 0
		.amdhsa_exception_fp_ieee_underflow 0
		.amdhsa_exception_fp_ieee_inexact 0
		.amdhsa_exception_int_div_zero 0
	.end_amdhsa_kernel
	.section	.text._ZN9rocsparseL30bellmm_general_blockdim_kernelILi32ELi32EfifffEEv20rocsparse_operation_S1_20rocsparse_direction_T2_S3_NS_24const_host_device_scalarIT1_EES3_S3_PKS3_PKT3_PKT4_l16rocsparse_order_S6_PT5_lSF_21rocsparse_index_base_b,"axG",@progbits,_ZN9rocsparseL30bellmm_general_blockdim_kernelILi32ELi32EfifffEEv20rocsparse_operation_S1_20rocsparse_direction_T2_S3_NS_24const_host_device_scalarIT1_EES3_S3_PKS3_PKT3_PKT4_l16rocsparse_order_S6_PT5_lSF_21rocsparse_index_base_b,comdat
.Lfunc_end2:
	.size	_ZN9rocsparseL30bellmm_general_blockdim_kernelILi32ELi32EfifffEEv20rocsparse_operation_S1_20rocsparse_direction_T2_S3_NS_24const_host_device_scalarIT1_EES3_S3_PKS3_PKT3_PKT4_l16rocsparse_order_S6_PT5_lSF_21rocsparse_index_base_b, .Lfunc_end2-_ZN9rocsparseL30bellmm_general_blockdim_kernelILi32ELi32EfifffEEv20rocsparse_operation_S1_20rocsparse_direction_T2_S3_NS_24const_host_device_scalarIT1_EES3_S3_PKS3_PKT3_PKT4_l16rocsparse_order_S6_PT5_lSF_21rocsparse_index_base_b
                                        ; -- End function
	.set _ZN9rocsparseL30bellmm_general_blockdim_kernelILi32ELi32EfifffEEv20rocsparse_operation_S1_20rocsparse_direction_T2_S3_NS_24const_host_device_scalarIT1_EES3_S3_PKS3_PKT3_PKT4_l16rocsparse_order_S6_PT5_lSF_21rocsparse_index_base_b.num_vgpr, 40
	.set _ZN9rocsparseL30bellmm_general_blockdim_kernelILi32ELi32EfifffEEv20rocsparse_operation_S1_20rocsparse_direction_T2_S3_NS_24const_host_device_scalarIT1_EES3_S3_PKS3_PKT3_PKT4_l16rocsparse_order_S6_PT5_lSF_21rocsparse_index_base_b.num_agpr, 0
	.set _ZN9rocsparseL30bellmm_general_blockdim_kernelILi32ELi32EfifffEEv20rocsparse_operation_S1_20rocsparse_direction_T2_S3_NS_24const_host_device_scalarIT1_EES3_S3_PKS3_PKT3_PKT4_l16rocsparse_order_S6_PT5_lSF_21rocsparse_index_base_b.numbered_sgpr, 38
	.set _ZN9rocsparseL30bellmm_general_blockdim_kernelILi32ELi32EfifffEEv20rocsparse_operation_S1_20rocsparse_direction_T2_S3_NS_24const_host_device_scalarIT1_EES3_S3_PKS3_PKT3_PKT4_l16rocsparse_order_S6_PT5_lSF_21rocsparse_index_base_b.num_named_barrier, 0
	.set _ZN9rocsparseL30bellmm_general_blockdim_kernelILi32ELi32EfifffEEv20rocsparse_operation_S1_20rocsparse_direction_T2_S3_NS_24const_host_device_scalarIT1_EES3_S3_PKS3_PKT3_PKT4_l16rocsparse_order_S6_PT5_lSF_21rocsparse_index_base_b.private_seg_size, 0
	.set _ZN9rocsparseL30bellmm_general_blockdim_kernelILi32ELi32EfifffEEv20rocsparse_operation_S1_20rocsparse_direction_T2_S3_NS_24const_host_device_scalarIT1_EES3_S3_PKS3_PKT3_PKT4_l16rocsparse_order_S6_PT5_lSF_21rocsparse_index_base_b.uses_vcc, 1
	.set _ZN9rocsparseL30bellmm_general_blockdim_kernelILi32ELi32EfifffEEv20rocsparse_operation_S1_20rocsparse_direction_T2_S3_NS_24const_host_device_scalarIT1_EES3_S3_PKS3_PKT3_PKT4_l16rocsparse_order_S6_PT5_lSF_21rocsparse_index_base_b.uses_flat_scratch, 0
	.set _ZN9rocsparseL30bellmm_general_blockdim_kernelILi32ELi32EfifffEEv20rocsparse_operation_S1_20rocsparse_direction_T2_S3_NS_24const_host_device_scalarIT1_EES3_S3_PKS3_PKT3_PKT4_l16rocsparse_order_S6_PT5_lSF_21rocsparse_index_base_b.has_dyn_sized_stack, 0
	.set _ZN9rocsparseL30bellmm_general_blockdim_kernelILi32ELi32EfifffEEv20rocsparse_operation_S1_20rocsparse_direction_T2_S3_NS_24const_host_device_scalarIT1_EES3_S3_PKS3_PKT3_PKT4_l16rocsparse_order_S6_PT5_lSF_21rocsparse_index_base_b.has_recursion, 0
	.set _ZN9rocsparseL30bellmm_general_blockdim_kernelILi32ELi32EfifffEEv20rocsparse_operation_S1_20rocsparse_direction_T2_S3_NS_24const_host_device_scalarIT1_EES3_S3_PKS3_PKT3_PKT4_l16rocsparse_order_S6_PT5_lSF_21rocsparse_index_base_b.has_indirect_call, 0
	.section	.AMDGPU.csdata,"",@progbits
; Kernel info:
; codeLenInByte = 1752
; TotalNumSgprs: 40
; NumVgprs: 40
; ScratchSize: 0
; MemoryBound: 0
; FloatMode: 240
; IeeeMode: 1
; LDSByteSize: 8192 bytes/workgroup (compile time only)
; SGPRBlocks: 0
; VGPRBlocks: 4
; NumSGPRsForWavesPerEU: 40
; NumVGPRsForWavesPerEU: 40
; Occupancy: 16
; WaveLimiterHint : 1
; COMPUTE_PGM_RSRC2:SCRATCH_EN: 0
; COMPUTE_PGM_RSRC2:USER_SGPR: 6
; COMPUTE_PGM_RSRC2:TRAP_HANDLER: 0
; COMPUTE_PGM_RSRC2:TGID_X_EN: 1
; COMPUTE_PGM_RSRC2:TGID_Y_EN: 1
; COMPUTE_PGM_RSRC2:TGID_Z_EN: 0
; COMPUTE_PGM_RSRC2:TIDIG_COMP_CNT: 1
	.section	.text._ZN9rocsparseL30bellmm_general_blockdim_kernelILi32ELi32EflfffEEv20rocsparse_operation_S1_20rocsparse_direction_T2_S3_NS_24const_host_device_scalarIT1_EES3_S3_PKS3_PKT3_PKT4_l16rocsparse_order_S6_PT5_lSF_21rocsparse_index_base_b,"axG",@progbits,_ZN9rocsparseL30bellmm_general_blockdim_kernelILi32ELi32EflfffEEv20rocsparse_operation_S1_20rocsparse_direction_T2_S3_NS_24const_host_device_scalarIT1_EES3_S3_PKS3_PKT3_PKT4_l16rocsparse_order_S6_PT5_lSF_21rocsparse_index_base_b,comdat
	.globl	_ZN9rocsparseL30bellmm_general_blockdim_kernelILi32ELi32EflfffEEv20rocsparse_operation_S1_20rocsparse_direction_T2_S3_NS_24const_host_device_scalarIT1_EES3_S3_PKS3_PKT3_PKT4_l16rocsparse_order_S6_PT5_lSF_21rocsparse_index_base_b ; -- Begin function _ZN9rocsparseL30bellmm_general_blockdim_kernelILi32ELi32EflfffEEv20rocsparse_operation_S1_20rocsparse_direction_T2_S3_NS_24const_host_device_scalarIT1_EES3_S3_PKS3_PKT3_PKT4_l16rocsparse_order_S6_PT5_lSF_21rocsparse_index_base_b
	.p2align	8
	.type	_ZN9rocsparseL30bellmm_general_blockdim_kernelILi32ELi32EflfffEEv20rocsparse_operation_S1_20rocsparse_direction_T2_S3_NS_24const_host_device_scalarIT1_EES3_S3_PKS3_PKT3_PKT4_l16rocsparse_order_S6_PT5_lSF_21rocsparse_index_base_b,@function
_ZN9rocsparseL30bellmm_general_blockdim_kernelILi32ELi32EflfffEEv20rocsparse_operation_S1_20rocsparse_direction_T2_S3_NS_24const_host_device_scalarIT1_EES3_S3_PKS3_PKT3_PKT4_l16rocsparse_order_S6_PT5_lSF_21rocsparse_index_base_b: ; @_ZN9rocsparseL30bellmm_general_blockdim_kernelILi32ELi32EflfffEEv20rocsparse_operation_S1_20rocsparse_direction_T2_S3_NS_24const_host_device_scalarIT1_EES3_S3_PKS3_PKT3_PKT4_l16rocsparse_order_S6_PT5_lSF_21rocsparse_index_base_b
; %bb.0:
	s_clause 0x2
	s_load_dwordx4 s[28:31], s[4:5], 0x78
	s_load_dwordx8 s[8:15], s[4:5], 0x10
	s_load_dwordx2 s[2:3], s[4:5], 0x60
	v_mov_b32_e32 v2, v1
	s_mov_b32 s0, s7
	s_waitcnt lgkmcnt(0)
	s_bitcmp1_b32 s30, 0
	s_cselect_b32 s1, -1, 0
	s_and_b32 vcc_lo, exec_lo, s1
	s_xor_b32 s1, s1, -1
	s_cbranch_vccnz .LBB3_2
; %bb.1:
	s_load_dword s12, s[12:13], 0x0
.LBB3_2:
	s_andn2_b32 vcc_lo, exec_lo, s1
	s_cbranch_vccnz .LBB3_4
; %bb.3:
	s_load_dword s2, s[2:3], 0x0
.LBB3_4:
	s_waitcnt lgkmcnt(0)
	v_cmp_eq_f32_e64 s1, s12, 0
	v_cmp_eq_f32_e64 s3, s2, 1.0
	s_mov_b32 s7, 0
	s_and_b32 s1, s1, s3
	s_and_b32 vcc_lo, exec_lo, s1
	s_cbranch_vccnz .LBB3_44
; %bb.5:
	s_load_dwordx2 s[30:31], s[4:5], 0x30
	v_cmp_le_i64_e64 s3, s[8:9], s[6:7]
	v_cmp_gt_i64_e64 s1, s[8:9], s[6:7]
	s_mov_b64 s[34:35], 0
	s_and_b32 vcc_lo, exec_lo, s3
	s_cbranch_vccnz .LBB3_9
; %bb.6:
	s_waitcnt lgkmcnt(0)
	s_or_b64 s[16:17], s[14:15], s[30:31]
	s_mov_b32 s16, 0
	s_cmp_lg_u64 s[16:17], 0
	s_cbranch_scc0 .LBB3_45
; %bb.7:
	s_ashr_i32 s18, s31, 31
	s_add_u32 s20, s30, s18
	s_mov_b32 s19, s18
	s_addc_u32 s21, s31, s18
	s_xor_b64 s[20:21], s[20:21], s[18:19]
	v_cvt_f32_u32_e32 v1, s20
	v_cvt_f32_u32_e32 v3, s21
	s_sub_u32 s13, 0, s20
	s_subb_u32 s17, 0, s21
	v_fmamk_f32 v1, v3, 0x4f800000, v1
	v_rcp_f32_e32 v1, v1
	v_mul_f32_e32 v1, 0x5f7ffffc, v1
	v_mul_f32_e32 v3, 0x2f800000, v1
	v_trunc_f32_e32 v3, v3
	v_fmamk_f32 v1, v3, 0xcf800000, v1
	v_cvt_u32_f32_e32 v3, v3
	v_cvt_u32_f32_e32 v1, v1
	v_readfirstlane_b32 s3, v3
	v_readfirstlane_b32 s7, v1
	s_mul_i32 s22, s13, s3
	s_mul_hi_u32 s24, s13, s7
	s_mul_i32 s23, s17, s7
	s_add_i32 s22, s24, s22
	s_mul_i32 s25, s13, s7
	s_add_i32 s22, s22, s23
	s_mul_hi_u32 s24, s7, s25
	s_mul_i32 s27, s7, s22
	s_mul_hi_u32 s26, s3, s25
	s_mul_i32 s23, s3, s25
	s_mul_hi_u32 s25, s7, s22
	s_add_u32 s24, s24, s27
	s_addc_u32 s25, 0, s25
	s_mul_hi_u32 s33, s3, s22
	s_add_u32 s23, s24, s23
	s_mul_i32 s22, s3, s22
	s_addc_u32 s23, s25, s26
	s_addc_u32 s24, s33, 0
	s_add_u32 s22, s23, s22
	s_addc_u32 s23, 0, s24
	s_add_u32 s7, s7, s22
	s_cselect_b32 s22, -1, 0
	s_mul_hi_u32 s24, s13, s7
	s_cmp_lg_u32 s22, 0
	s_mul_i32 s22, s13, s7
	s_addc_u32 s3, s3, s23
	s_mul_i32 s17, s17, s7
	s_mul_i32 s13, s13, s3
	s_mul_hi_u32 s23, s7, s22
	s_add_i32 s13, s24, s13
	s_mul_hi_u32 s24, s3, s22
	s_add_i32 s13, s13, s17
	s_mul_i32 s17, s3, s22
	s_mul_i32 s26, s7, s13
	s_mul_hi_u32 s25, s7, s13
	s_add_u32 s23, s23, s26
	s_addc_u32 s25, 0, s25
	s_mul_hi_u32 s22, s3, s13
	s_add_u32 s17, s23, s17
	s_mul_i32 s13, s3, s13
	s_addc_u32 s17, s25, s24
	s_addc_u32 s22, s22, 0
	s_add_u32 s13, s17, s13
	s_addc_u32 s17, 0, s22
	s_add_u32 s7, s7, s13
	s_cselect_b32 s13, -1, 0
	s_cmp_lg_u32 s13, 0
	s_addc_u32 s3, s3, s17
	s_ashr_i32 s22, s15, 31
	s_add_u32 s24, s14, s22
	s_mov_b32 s23, s22
	s_addc_u32 s25, s15, s22
	s_xor_b64 s[24:25], s[24:25], s[22:23]
	s_mul_i32 s15, s24, s3
	s_mul_hi_u32 s17, s24, s7
	s_mul_hi_u32 s13, s24, s3
	;; [unrolled: 1-line block ×3, first 2 shown]
	s_mul_i32 s7, s25, s7
	s_add_u32 s15, s17, s15
	s_addc_u32 s13, 0, s13
	s_mul_hi_u32 s26, s25, s3
	s_add_u32 s7, s15, s7
	s_mul_i32 s3, s25, s3
	s_addc_u32 s7, s13, s27
	s_addc_u32 s13, s26, 0
	s_add_u32 s3, s7, s3
	s_addc_u32 s7, 0, s13
	s_mul_hi_u32 s13, s20, s3
	s_mul_i32 s15, s20, s7
	s_mul_i32 s17, s21, s3
	s_add_i32 s13, s13, s15
	s_mul_i32 s15, s20, s3
	s_add_i32 s13, s13, s17
	s_sub_i32 s17, s25, s13
	s_sub_u32 s15, s24, s15
	s_cselect_b32 s24, -1, 0
	s_cmp_lg_u32 s24, 0
	s_subb_u32 s17, s17, s21
	s_sub_u32 s26, s15, s20
	s_cselect_b32 s27, -1, 0
	s_cmp_lg_u32 s27, 0
	s_subb_u32 s17, s17, 0
	s_cmp_ge_u32 s17, s21
	s_cselect_b32 s27, -1, 0
	s_cmp_ge_u32 s26, s20
	s_cselect_b32 s26, -1, 0
	s_cmp_eq_u32 s17, s21
	s_cselect_b32 s17, s26, s27
	s_add_u32 s26, s3, 1
	s_addc_u32 s27, s7, 0
	s_add_u32 s33, s3, 2
	s_addc_u32 s34, s7, 0
	s_cmp_lg_u32 s17, 0
	s_cselect_b32 s17, s33, s26
	s_cselect_b32 s26, s34, s27
	s_cmp_lg_u32 s24, 0
	s_subb_u32 s13, s25, s13
	s_cmp_ge_u32 s13, s21
	s_cselect_b32 s24, -1, 0
	s_cmp_ge_u32 s15, s20
	s_cselect_b32 s15, -1, 0
	s_cmp_eq_u32 s13, s21
	s_cselect_b32 s13, s15, s24
	s_cmp_lg_u32 s13, 0
	s_cselect_b32 s21, s26, s7
	s_cselect_b32 s20, s17, s3
	s_xor_b64 s[18:19], s[22:23], s[18:19]
	s_xor_b64 s[20:21], s[20:21], s[18:19]
	s_sub_u32 s34, s20, s18
	s_subb_u32 s35, s21, s19
	s_andn2_b32 vcc_lo, exec_lo, s16
	s_cbranch_vccnz .LBB3_9
.LBB3_8:
	v_cvt_f32_u32_e32 v1, s30
	s_sub_i32 s7, 0, s30
	s_mov_b32 s35, 0
	v_rcp_iflag_f32_e32 v1, v1
	v_mul_f32_e32 v1, 0x4f7ffffe, v1
	v_cvt_u32_f32_e32 v1, v1
	v_readfirstlane_b32 s3, v1
	s_mul_i32 s7, s7, s3
	s_mul_hi_u32 s7, s3, s7
	s_add_i32 s3, s3, s7
	s_mul_hi_u32 s3, s14, s3
	s_mul_i32 s7, s3, s30
	s_add_i32 s13, s3, 1
	s_sub_i32 s7, s14, s7
	s_sub_i32 s14, s7, s30
	s_cmp_ge_u32 s7, s30
	s_cselect_b32 s3, s13, s3
	s_cselect_b32 s7, s14, s7
	s_add_i32 s13, s3, 1
	s_cmp_ge_u32 s7, s30
	s_cselect_b32 s34, s13, s3
.LBB3_9:
	s_waitcnt lgkmcnt(0)
	v_cmp_lt_i64_e64 s3, s[30:31], 1
	s_and_b32 vcc_lo, exec_lo, s3
	s_cbranch_vccnz .LBB3_44
; %bb.10:
	s_clause 0x3
	s_load_dwordx2 s[36:37], s[4:5], 0x4
	s_load_dword s7, s[4:5], 0x58
	s_load_dwordx4 s[24:27], s[4:5], 0x68
	s_load_dwordx8 s[16:23], s[4:5], 0x38
	s_lshl_b32 s0, s0, 5
	s_mul_i32 s5, s31, s6
	v_add_co_u32 v5, s0, s0, v2
	s_mul_hi_u32 s13, s30, s6
	v_add_co_ci_u32_e64 v6, null, 0, 0, s0
	s_add_i32 s5, s13, s5
	v_lshlrev_b32_e32 v3, 2, v0
	s_mul_i32 s4, s30, s6
	v_cmp_gt_i64_e64 s0, s[10:11], v[5:6]
	v_mov_b32_e32 v1, 0
	s_mov_b32 s3, s29
	v_or_b32_e32 v17, 0x1000, v3
	v_lshlrev_b32_e32 v31, 7, v2
	s_mul_i32 s38, s30, s30
	s_waitcnt lgkmcnt(0)
	s_cmpk_eq_i32 s36, 0x6f
	v_mov_b32_e32 v14, v1
	s_cselect_b32 s10, -1, 0
	s_cmp_lg_u32 s7, 1
	v_mul_lo_u32 v4, s27, v5
	v_mul_lo_u32 v11, s26, v6
	v_mad_u64_u32 v[7:8], null, s26, v5, 0
	s_cselect_b32 s11, -1, 0
	s_cmp_lg_u32 s37, 0
	v_mul_lo_u32 v12, s23, v5
	v_mul_lo_u32 v13, s22, v6
	v_mad_u64_u32 v[9:10], null, s22, v5, 0
	s_cselect_b32 s7, -1, 0
	s_cmp_lg_u32 s28, 1
	v_add3_u32 v8, v8, v11, v4
	s_cselect_b32 s13, -1, 0
	s_lshl_b64 s[28:29], s[4:5], 2
	s_and_b32 s33, s1, s0
	s_xor_b32 s1, s10, s11
	v_add_co_u32 v4, s10, s28, v3
	v_add3_u32 v10, v10, v13, v12
	v_add_co_ci_u32_e64 v11, null, s29, 0, s10
	v_lshlrev_b32_e32 v13, 2, v2
	v_mul_lo_u32 v16, s31, v4
	v_lshlrev_b64 v[9:10], 2, v[9:10]
	v_mul_lo_u32 v15, s30, v11
	s_xor_b32 s41, s1, -1
	v_mad_u64_u32 v[11:12], null, s30, v4, v[13:14]
	v_add_co_u32 v13, s28, s28, v13
	v_mov_b32_e32 v4, v1
	v_add_co_ci_u32_e64 v14, null, s29, 0, s28
	v_add_co_u32 v9, vcc_lo, v9, v3
	v_add3_u32 v12, v16, v12, v15
	v_mul_lo_u32 v18, s30, v14
	v_mul_lo_u32 v19, s31, v13
	v_mad_u64_u32 v[15:16], null, s30, v13, v[3:4]
	v_add_co_ci_u32_e64 v10, null, 0, v10, vcc_lo
	v_lshlrev_b64 v[13:14], 2, v[5:6]
	v_add_co_u32 v9, vcc_lo, s20, v9
	s_mul_i32 s1, s30, s31
	s_mul_hi_u32 s36, s30, s30
	v_add_co_ci_u32_e64 v10, null, s21, v10, vcc_lo
	v_add_co_u32 v11, vcc_lo, s18, v11
	s_add_i32 s28, s36, s1
	v_add3_u32 v4, v19, v16, v18
	v_add_co_ci_u32_e64 v12, null, s19, v12, vcc_lo
	v_add_co_u32 v13, vcc_lo, s20, v13
	s_mul_i32 s29, s38, s9
	s_mul_hi_u32 s36, s38, s8
	s_add_i32 s1, s28, s1
	v_add_co_ci_u32_e64 v14, null, s21, v14, vcc_lo
	v_add_co_u32 v15, vcc_lo, s18, v15
	s_add_i32 s36, s36, s29
	s_mul_i32 s1, s1, s8
	v_cmp_gt_i64_e64 s42, s[34:35], 0
	v_cmp_neq_f32_e64 s40, s2, 0
	v_add_co_ci_u32_e64 v16, null, s19, v4, vcc_lo
	v_add_nc_u32_e32 v4, v17, v31
	v_add_nc_u32_e32 v32, v3, v31
	;; [unrolled: 1-line block ×5, first 2 shown]
	s_add_i32 s37, s36, s1
	s_mul_i32 s36, s38, s8
	s_mov_b64 s[14:15], 0
	s_lshl_b64 s[10:11], s[30:31], 2
	s_lshl_b64 s[28:29], s[30:31], 7
	;; [unrolled: 1-line block ×5, first 2 shown]
	s_branch .LBB3_12
.LBB3_11:                               ;   in Loop: Header=BB3_12 Depth=1
	s_or_b32 exec_lo, exec_lo, s1
	s_add_u32 s14, s14, 32
	s_addc_u32 s15, s15, 0
	v_add_co_u32 v11, vcc_lo, v11, s28
	v_cmp_lt_i64_e64 s1, s[14:15], s[30:31]
	v_add_co_ci_u32_e64 v12, null, s29, v12, vcc_lo
	v_add_co_u32 v15, vcc_lo, 0x80, v15
	v_add_co_ci_u32_e64 v16, null, 0, v16, vcc_lo
	s_and_b32 vcc_lo, exec_lo, s1
	s_cbranch_vccz .LBB3_44
.LBB3_12:                               ; =>This Loop Header: Depth=1
                                        ;     Child Loop BB3_15 Depth 2
                                        ;       Child Loop BB3_17 Depth 3
	v_add_co_u32 v17, s1, s14, v0
	v_add_co_ci_u32_e64 v18, null, s15, 0, s1
	v_mov_b32_e32 v36, 0
	s_andn2_b32 vcc_lo, exec_lo, s42
	v_cmp_gt_i64_e64 s1, s[30:31], v[17:18]
	s_cbranch_vccnz .LBB3_35
; %bb.13:                               ;   in Loop: Header=BB3_12 Depth=1
	v_mov_b32_e32 v20, v16
	v_mov_b32_e32 v22, v12
	;; [unrolled: 1-line block ×5, first 2 shown]
	s_mov_b64 s[36:37], 0
	s_branch .LBB3_15
.LBB3_14:                               ;   in Loop: Header=BB3_15 Depth=2
	v_add_co_u32 v21, vcc_lo, v21, s18
	v_add_co_ci_u32_e64 v22, null, s19, v22, vcc_lo
	v_add_co_u32 v19, vcc_lo, v19, s18
	s_add_u32 s36, s36, 1
	v_add_co_ci_u32_e64 v20, null, s19, v20, vcc_lo
	s_addc_u32 s37, s37, 0
	s_cmp_eq_u64 s[36:37], s[34:35]
	s_cbranch_scc1 .LBB3_35
.LBB3_15:                               ;   Parent Loop BB3_12 Depth=1
                                        ; =>  This Loop Header: Depth=2
                                        ;       Child Loop BB3_17 Depth 3
	s_mul_i32 s38, s36, s9
	s_mul_hi_u32 s39, s36, s8
	s_mul_i32 s43, s36, s8
	s_add_i32 s38, s39, s38
	s_mul_i32 s39, s37, s8
	s_add_i32 s39, s38, s39
	s_add_u32 s38, s43, s6
	s_addc_u32 s39, s39, 0
	s_lshl_b64 s[38:39], s[38:39], 3
	s_add_u32 s38, s16, s38
	s_addc_u32 s39, s17, s39
	s_load_dwordx2 s[38:39], s[38:39], 0x0
	s_waitcnt lgkmcnt(0)
	s_sub_u32 s38, s38, s3
	s_subb_u32 s39, s39, 0
	v_mad_u64_u32 v[25:26], null, s38, s30, v[0:1]
	s_mul_i32 s43, s38, s31
	s_mul_i32 s44, s39, s30
	v_mad_u64_u32 v[23:24], null, s10, s38, v[9:10]
	s_mul_i32 s45, s10, s39
	v_add3_u32 v27, s43, s44, v26
	v_mul_lo_u32 v29, s21, v25
	v_mad_u64_u32 v[25:26], null, s20, v25, v[13:14]
	s_mul_i32 s44, s11, s38
	v_mul_lo_u32 v30, s20, v27
	v_mov_b32_e32 v28, v20
	v_cmp_gt_i64_e64 s43, s[38:39], -1
	v_mov_b32_e32 v27, v19
	v_add3_u32 v24, s45, s44, v24
	s_mov_b64 s[38:39], 0
	v_add3_u32 v26, v29, v26, v30
	v_mov_b32_e32 v30, v22
	v_mov_b32_e32 v29, v21
	s_branch .LBB3_17
.LBB3_16:                               ;   in Loop: Header=BB3_17 Depth=3
	v_add_co_u32 v23, vcc_lo, 0x80, v23
	s_add_u32 s38, s38, 32
	v_add_co_ci_u32_e64 v24, null, 0, v24, vcc_lo
	v_add_co_u32 v29, vcc_lo, 0x80, v29
	s_addc_u32 s39, s39, 0
	v_add_co_ci_u32_e64 v30, null, 0, v30, vcc_lo
	v_add_co_u32 v25, vcc_lo, v25, s22
	v_cmp_ge_i64_e64 s44, s[38:39], s[30:31]
	v_add_co_ci_u32_e64 v26, null, s23, v26, vcc_lo
	v_add_co_u32 v27, vcc_lo, v27, s28
	v_add_co_ci_u32_e64 v28, null, s29, v28, vcc_lo
	s_and_b32 vcc_lo, exec_lo, s44
	s_barrier
	buffer_gl0_inv
	s_cbranch_vccnz .LBB3_14
.LBB3_17:                               ;   Parent Loop BB3_12 Depth=1
                                        ;     Parent Loop BB3_15 Depth=2
                                        ; =>    This Inner Loop Header: Depth=3
	v_add_co_u32 v37, s44, v0, s38
	v_add_co_ci_u32_e64 v38, null, 0, s39, s44
	s_mov_b32 s45, -1
	v_cmp_gt_i64_e32 vcc_lo, s[30:31], v[37:38]
                                        ; implicit-def: $vgpr37
	s_and_b32 s44, s0, vcc_lo
	s_and_b32 vcc_lo, exec_lo, s41
	s_and_b32 s44, s44, s43
	s_cbranch_vccz .LBB3_21
; %bb.18:                               ;   in Loop: Header=BB3_17 Depth=3
	v_mov_b32_e32 v37, 0
	s_and_saveexec_b32 s45, s44
	s_cbranch_execz .LBB3_20
; %bb.19:                               ;   in Loop: Header=BB3_17 Depth=3
	global_load_dword v37, v[25:26], off
.LBB3_20:                               ;   in Loop: Header=BB3_17 Depth=3
	s_or_b32 exec_lo, exec_lo, s45
	s_mov_b32 s45, 0
.LBB3_21:                               ;   in Loop: Header=BB3_17 Depth=3
	s_andn2_b32 vcc_lo, exec_lo, s45
	s_cbranch_vccnz .LBB3_25
; %bb.22:                               ;   in Loop: Header=BB3_17 Depth=3
	s_waitcnt vmcnt(0)
	v_mov_b32_e32 v37, 0
	s_and_saveexec_b32 s45, s44
	s_cbranch_execz .LBB3_24
; %bb.23:                               ;   in Loop: Header=BB3_17 Depth=3
	global_load_dword v37, v[23:24], off
.LBB3_24:                               ;   in Loop: Header=BB3_17 Depth=3
	s_or_b32 exec_lo, exec_lo, s45
.LBB3_25:                               ;   in Loop: Header=BB3_17 Depth=3
	v_add_co_u32 v38, s44, v2, s38
	v_add_co_ci_u32_e64 v39, null, 0, s39, s44
	s_waitcnt vmcnt(0)
	ds_write_b32 v4, v37
	v_cmp_gt_i64_e32 vcc_lo, s[30:31], v[38:39]
	s_and_b32 s44, s1, vcc_lo
	s_and_b32 vcc_lo, exec_lo, s7
	s_and_b32 s44, s44, s43
	s_cbranch_vccz .LBB3_29
; %bb.26:                               ;   in Loop: Header=BB3_17 Depth=3
	v_mov_b32_e32 v37, 0
	s_and_saveexec_b32 s45, s44
	s_cbranch_execz .LBB3_28
; %bb.27:                               ;   in Loop: Header=BB3_17 Depth=3
	global_load_dword v37, v[27:28], off
.LBB3_28:                               ;   in Loop: Header=BB3_17 Depth=3
	s_or_b32 exec_lo, exec_lo, s45
	s_cbranch_execz .LBB3_30
	s_branch .LBB3_33
.LBB3_29:                               ;   in Loop: Header=BB3_17 Depth=3
                                        ; implicit-def: $vgpr37
.LBB3_30:                               ;   in Loop: Header=BB3_17 Depth=3
	s_waitcnt vmcnt(0)
	v_mov_b32_e32 v37, 0
	s_and_saveexec_b32 s45, s44
	s_cbranch_execz .LBB3_32
; %bb.31:                               ;   in Loop: Header=BB3_17 Depth=3
	global_load_dword v37, v[29:30], off
.LBB3_32:                               ;   in Loop: Header=BB3_17 Depth=3
	s_or_b32 exec_lo, exec_lo, s45
.LBB3_33:                               ;   in Loop: Header=BB3_17 Depth=3
	s_andn2_b32 vcc_lo, exec_lo, s43
	s_waitcnt vmcnt(0)
	ds_write_b32 v32, v37
	s_waitcnt lgkmcnt(0)
	s_barrier
	buffer_gl0_inv
	s_cbranch_vccnz .LBB3_16
; %bb.34:                               ;   in Loop: Header=BB3_17 Depth=3
	ds_read2_b32 v[45:46], v3 offset1:32
	ds_read_b128 v[37:40], v31 offset:4096
	ds_read2_b32 v[47:48], v3 offset0:64 offset1:96
	ds_read_b128 v[41:44], v31 offset:4112
	ds_read2_b32 v[49:50], v3 offset0:128 offset1:160
	s_waitcnt lgkmcnt(3)
	v_fmac_f32_e32 v36, v45, v37
	v_fmac_f32_e32 v36, v46, v38
	ds_read2_b32 v[45:46], v3 offset0:192 offset1:224
	s_waitcnt lgkmcnt(3)
	v_fmac_f32_e32 v36, v47, v39
	v_fmac_f32_e32 v36, v48, v40
	ds_read_b128 v[37:40], v31 offset:4128
	ds_read2_b32 v[47:48], v33 offset1:32
	s_waitcnt lgkmcnt(3)
	v_fmac_f32_e32 v36, v49, v41
	v_fmac_f32_e32 v36, v50, v42
	ds_read2_b32 v[49:50], v33 offset0:64 offset1:96
	s_waitcnt lgkmcnt(3)
	v_fmac_f32_e32 v36, v45, v43
	v_fmac_f32_e32 v36, v46, v44
	ds_read_b128 v[41:44], v31 offset:4144
	ds_read2_b32 v[45:46], v33 offset0:128 offset1:160
	s_waitcnt lgkmcnt(3)
	v_fmac_f32_e32 v36, v47, v37
	v_fmac_f32_e32 v36, v48, v38
	ds_read2_b32 v[47:48], v33 offset0:192 offset1:224
	s_waitcnt lgkmcnt(3)
	v_fmac_f32_e32 v36, v49, v39
	v_fmac_f32_e32 v36, v50, v40
	ds_read2_b32 v[49:50], v34 offset1:32
	ds_read_b128 v[37:40], v31 offset:4160
	s_waitcnt lgkmcnt(3)
	v_fmac_f32_e32 v36, v45, v41
	v_fmac_f32_e32 v36, v46, v42
	ds_read2_b32 v[45:46], v34 offset0:64 offset1:96
	s_waitcnt lgkmcnt(3)
	v_fmac_f32_e32 v36, v47, v43
	v_fmac_f32_e32 v36, v48, v44
	ds_read2_b32 v[47:48], v34 offset0:128 offset1:160
	ds_read_b128 v[41:44], v31 offset:4176
	s_waitcnt lgkmcnt(3)
	v_fmac_f32_e32 v36, v49, v37
	v_fmac_f32_e32 v36, v50, v38
	ds_read2_b32 v[49:50], v34 offset0:192 offset1:224
	s_waitcnt lgkmcnt(3)
	v_fmac_f32_e32 v36, v45, v39
	v_fmac_f32_e32 v36, v46, v40
	ds_read2_b32 v[45:46], v35 offset1:32
	ds_read_b128 v[37:40], v31 offset:4192
	s_waitcnt lgkmcnt(3)
	v_fmac_f32_e32 v36, v47, v41
	v_fmac_f32_e32 v36, v48, v42
	ds_read2_b32 v[47:48], v35 offset0:64 offset1:96
	s_waitcnt lgkmcnt(3)
	v_fmac_f32_e32 v36, v49, v43
	v_fmac_f32_e32 v36, v50, v44
	ds_read_b128 v[41:44], v31 offset:4208
	ds_read2_b32 v[49:50], v35 offset0:128 offset1:160
	s_waitcnt lgkmcnt(3)
	v_fmac_f32_e32 v36, v45, v37
	v_fmac_f32_e32 v36, v46, v38
	ds_read2_b32 v[37:38], v35 offset0:192 offset1:224
	s_waitcnt lgkmcnt(3)
	v_fmac_f32_e32 v36, v47, v39
	v_fmac_f32_e32 v36, v48, v40
	s_waitcnt lgkmcnt(1)
	v_fmac_f32_e32 v36, v49, v41
	v_fmac_f32_e32 v36, v50, v42
	;; [unrolled: 3-line block ×3, first 2 shown]
	s_branch .LBB3_16
.LBB3_35:                               ;   in Loop: Header=BB3_12 Depth=1
	v_add_co_u32 v21, vcc_lo, v17, s4
	v_add_co_ci_u32_e64 v22, null, s5, v18, vcc_lo
	s_and_b32 vcc_lo, exec_lo, s13
	s_mov_b32 s1, -1
                                        ; implicit-def: $vgpr19_vgpr20
	s_cbranch_vccnz .LBB3_38
; %bb.36:                               ;   in Loop: Header=BB3_12 Depth=1
	s_andn2_b32 vcc_lo, exec_lo, s1
	s_cbranch_vccz .LBB3_39
.LBB3_37:                               ;   in Loop: Header=BB3_12 Depth=1
	v_cmp_gt_i64_e32 vcc_lo, s[30:31], v[17:18]
	s_and_b32 s36, s33, vcc_lo
	s_and_saveexec_b32 s1, s36
	s_cbranch_execz .LBB3_11
	s_branch .LBB3_40
.LBB3_38:                               ;   in Loop: Header=BB3_12 Depth=1
	v_mad_u64_u32 v[19:20], null, v21, s26, v[5:6]
	v_mul_lo_u32 v23, v21, s27
	v_mul_lo_u32 v24, v22, s26
	v_add3_u32 v20, v24, v20, v23
	s_cbranch_execnz .LBB3_37
.LBB3_39:                               ;   in Loop: Header=BB3_12 Depth=1
	v_add_co_u32 v19, vcc_lo, v21, v7
	v_add_co_ci_u32_e64 v20, null, v22, v8, vcc_lo
	v_cmp_gt_i64_e32 vcc_lo, s[30:31], v[17:18]
	s_and_b32 s36, s33, vcc_lo
	s_and_saveexec_b32 s1, s36
	s_cbranch_execz .LBB3_11
.LBB3_40:                               ;   in Loop: Header=BB3_12 Depth=1
	v_lshlrev_b64 v[17:18], 2, v[19:20]
	v_mul_f32_e32 v19, s12, v36
	s_and_b32 vcc_lo, exec_lo, s40
	s_cbranch_vccz .LBB3_42
; %bb.41:                               ;   in Loop: Header=BB3_12 Depth=1
	v_add_co_u32 v20, vcc_lo, s24, v17
	v_add_co_ci_u32_e64 v21, null, s25, v18, vcc_lo
	global_load_dword v22, v[20:21], off
	s_waitcnt vmcnt(0)
	v_fma_f32 v22, s2, v22, v19
	global_store_dword v[20:21], v22, off
	s_cbranch_execnz .LBB3_11
	s_branch .LBB3_43
.LBB3_42:                               ;   in Loop: Header=BB3_12 Depth=1
.LBB3_43:                               ;   in Loop: Header=BB3_12 Depth=1
	v_add_co_u32 v17, vcc_lo, s24, v17
	v_add_co_ci_u32_e64 v18, null, s25, v18, vcc_lo
	global_store_dword v[17:18], v19, off
	s_branch .LBB3_11
.LBB3_44:
	s_endpgm
.LBB3_45:
                                        ; implicit-def: $sgpr34_sgpr35
	s_branch .LBB3_8
	.section	.rodata,"a",@progbits
	.p2align	6, 0x0
	.amdhsa_kernel _ZN9rocsparseL30bellmm_general_blockdim_kernelILi32ELi32EflfffEEv20rocsparse_operation_S1_20rocsparse_direction_T2_S3_NS_24const_host_device_scalarIT1_EES3_S3_PKS3_PKT3_PKT4_l16rocsparse_order_S6_PT5_lSF_21rocsparse_index_base_b
		.amdhsa_group_segment_fixed_size 8192
		.amdhsa_private_segment_fixed_size 0
		.amdhsa_kernarg_size 132
		.amdhsa_user_sgpr_count 6
		.amdhsa_user_sgpr_private_segment_buffer 1
		.amdhsa_user_sgpr_dispatch_ptr 0
		.amdhsa_user_sgpr_queue_ptr 0
		.amdhsa_user_sgpr_kernarg_segment_ptr 1
		.amdhsa_user_sgpr_dispatch_id 0
		.amdhsa_user_sgpr_flat_scratch_init 0
		.amdhsa_user_sgpr_private_segment_size 0
		.amdhsa_wavefront_size32 1
		.amdhsa_uses_dynamic_stack 0
		.amdhsa_system_sgpr_private_segment_wavefront_offset 0
		.amdhsa_system_sgpr_workgroup_id_x 1
		.amdhsa_system_sgpr_workgroup_id_y 1
		.amdhsa_system_sgpr_workgroup_id_z 0
		.amdhsa_system_sgpr_workgroup_info 0
		.amdhsa_system_vgpr_workitem_id 1
		.amdhsa_next_free_vgpr 51
		.amdhsa_next_free_sgpr 46
		.amdhsa_reserve_vcc 1
		.amdhsa_reserve_flat_scratch 0
		.amdhsa_float_round_mode_32 0
		.amdhsa_float_round_mode_16_64 0
		.amdhsa_float_denorm_mode_32 3
		.amdhsa_float_denorm_mode_16_64 3
		.amdhsa_dx10_clamp 1
		.amdhsa_ieee_mode 1
		.amdhsa_fp16_overflow 0
		.amdhsa_workgroup_processor_mode 1
		.amdhsa_memory_ordered 1
		.amdhsa_forward_progress 1
		.amdhsa_shared_vgpr_count 0
		.amdhsa_exception_fp_ieee_invalid_op 0
		.amdhsa_exception_fp_denorm_src 0
		.amdhsa_exception_fp_ieee_div_zero 0
		.amdhsa_exception_fp_ieee_overflow 0
		.amdhsa_exception_fp_ieee_underflow 0
		.amdhsa_exception_fp_ieee_inexact 0
		.amdhsa_exception_int_div_zero 0
	.end_amdhsa_kernel
	.section	.text._ZN9rocsparseL30bellmm_general_blockdim_kernelILi32ELi32EflfffEEv20rocsparse_operation_S1_20rocsparse_direction_T2_S3_NS_24const_host_device_scalarIT1_EES3_S3_PKS3_PKT3_PKT4_l16rocsparse_order_S6_PT5_lSF_21rocsparse_index_base_b,"axG",@progbits,_ZN9rocsparseL30bellmm_general_blockdim_kernelILi32ELi32EflfffEEv20rocsparse_operation_S1_20rocsparse_direction_T2_S3_NS_24const_host_device_scalarIT1_EES3_S3_PKS3_PKT3_PKT4_l16rocsparse_order_S6_PT5_lSF_21rocsparse_index_base_b,comdat
.Lfunc_end3:
	.size	_ZN9rocsparseL30bellmm_general_blockdim_kernelILi32ELi32EflfffEEv20rocsparse_operation_S1_20rocsparse_direction_T2_S3_NS_24const_host_device_scalarIT1_EES3_S3_PKS3_PKT3_PKT4_l16rocsparse_order_S6_PT5_lSF_21rocsparse_index_base_b, .Lfunc_end3-_ZN9rocsparseL30bellmm_general_blockdim_kernelILi32ELi32EflfffEEv20rocsparse_operation_S1_20rocsparse_direction_T2_S3_NS_24const_host_device_scalarIT1_EES3_S3_PKS3_PKT3_PKT4_l16rocsparse_order_S6_PT5_lSF_21rocsparse_index_base_b
                                        ; -- End function
	.set _ZN9rocsparseL30bellmm_general_blockdim_kernelILi32ELi32EflfffEEv20rocsparse_operation_S1_20rocsparse_direction_T2_S3_NS_24const_host_device_scalarIT1_EES3_S3_PKS3_PKT3_PKT4_l16rocsparse_order_S6_PT5_lSF_21rocsparse_index_base_b.num_vgpr, 51
	.set _ZN9rocsparseL30bellmm_general_blockdim_kernelILi32ELi32EflfffEEv20rocsparse_operation_S1_20rocsparse_direction_T2_S3_NS_24const_host_device_scalarIT1_EES3_S3_PKS3_PKT3_PKT4_l16rocsparse_order_S6_PT5_lSF_21rocsparse_index_base_b.num_agpr, 0
	.set _ZN9rocsparseL30bellmm_general_blockdim_kernelILi32ELi32EflfffEEv20rocsparse_operation_S1_20rocsparse_direction_T2_S3_NS_24const_host_device_scalarIT1_EES3_S3_PKS3_PKT3_PKT4_l16rocsparse_order_S6_PT5_lSF_21rocsparse_index_base_b.numbered_sgpr, 46
	.set _ZN9rocsparseL30bellmm_general_blockdim_kernelILi32ELi32EflfffEEv20rocsparse_operation_S1_20rocsparse_direction_T2_S3_NS_24const_host_device_scalarIT1_EES3_S3_PKS3_PKT3_PKT4_l16rocsparse_order_S6_PT5_lSF_21rocsparse_index_base_b.num_named_barrier, 0
	.set _ZN9rocsparseL30bellmm_general_blockdim_kernelILi32ELi32EflfffEEv20rocsparse_operation_S1_20rocsparse_direction_T2_S3_NS_24const_host_device_scalarIT1_EES3_S3_PKS3_PKT3_PKT4_l16rocsparse_order_S6_PT5_lSF_21rocsparse_index_base_b.private_seg_size, 0
	.set _ZN9rocsparseL30bellmm_general_blockdim_kernelILi32ELi32EflfffEEv20rocsparse_operation_S1_20rocsparse_direction_T2_S3_NS_24const_host_device_scalarIT1_EES3_S3_PKS3_PKT3_PKT4_l16rocsparse_order_S6_PT5_lSF_21rocsparse_index_base_b.uses_vcc, 1
	.set _ZN9rocsparseL30bellmm_general_blockdim_kernelILi32ELi32EflfffEEv20rocsparse_operation_S1_20rocsparse_direction_T2_S3_NS_24const_host_device_scalarIT1_EES3_S3_PKS3_PKT3_PKT4_l16rocsparse_order_S6_PT5_lSF_21rocsparse_index_base_b.uses_flat_scratch, 0
	.set _ZN9rocsparseL30bellmm_general_blockdim_kernelILi32ELi32EflfffEEv20rocsparse_operation_S1_20rocsparse_direction_T2_S3_NS_24const_host_device_scalarIT1_EES3_S3_PKS3_PKT3_PKT4_l16rocsparse_order_S6_PT5_lSF_21rocsparse_index_base_b.has_dyn_sized_stack, 0
	.set _ZN9rocsparseL30bellmm_general_blockdim_kernelILi32ELi32EflfffEEv20rocsparse_operation_S1_20rocsparse_direction_T2_S3_NS_24const_host_device_scalarIT1_EES3_S3_PKS3_PKT3_PKT4_l16rocsparse_order_S6_PT5_lSF_21rocsparse_index_base_b.has_recursion, 0
	.set _ZN9rocsparseL30bellmm_general_blockdim_kernelILi32ELi32EflfffEEv20rocsparse_operation_S1_20rocsparse_direction_T2_S3_NS_24const_host_device_scalarIT1_EES3_S3_PKS3_PKT3_PKT4_l16rocsparse_order_S6_PT5_lSF_21rocsparse_index_base_b.has_indirect_call, 0
	.section	.AMDGPU.csdata,"",@progbits
; Kernel info:
; codeLenInByte = 2696
; TotalNumSgprs: 48
; NumVgprs: 51
; ScratchSize: 0
; MemoryBound: 0
; FloatMode: 240
; IeeeMode: 1
; LDSByteSize: 8192 bytes/workgroup (compile time only)
; SGPRBlocks: 0
; VGPRBlocks: 6
; NumSGPRsForWavesPerEU: 48
; NumVGPRsForWavesPerEU: 51
; Occupancy: 16
; WaveLimiterHint : 1
; COMPUTE_PGM_RSRC2:SCRATCH_EN: 0
; COMPUTE_PGM_RSRC2:USER_SGPR: 6
; COMPUTE_PGM_RSRC2:TRAP_HANDLER: 0
; COMPUTE_PGM_RSRC2:TGID_X_EN: 1
; COMPUTE_PGM_RSRC2:TGID_Y_EN: 1
; COMPUTE_PGM_RSRC2:TGID_Z_EN: 0
; COMPUTE_PGM_RSRC2:TIDIG_COMP_CNT: 1
	.section	.text._ZN9rocsparseL30bellmm_general_blockdim_kernelILi32ELi32EdidddEEv20rocsparse_operation_S1_20rocsparse_direction_T2_S3_NS_24const_host_device_scalarIT1_EES3_S3_PKS3_PKT3_PKT4_l16rocsparse_order_S6_PT5_lSF_21rocsparse_index_base_b,"axG",@progbits,_ZN9rocsparseL30bellmm_general_blockdim_kernelILi32ELi32EdidddEEv20rocsparse_operation_S1_20rocsparse_direction_T2_S3_NS_24const_host_device_scalarIT1_EES3_S3_PKS3_PKT3_PKT4_l16rocsparse_order_S6_PT5_lSF_21rocsparse_index_base_b,comdat
	.globl	_ZN9rocsparseL30bellmm_general_blockdim_kernelILi32ELi32EdidddEEv20rocsparse_operation_S1_20rocsparse_direction_T2_S3_NS_24const_host_device_scalarIT1_EES3_S3_PKS3_PKT3_PKT4_l16rocsparse_order_S6_PT5_lSF_21rocsparse_index_base_b ; -- Begin function _ZN9rocsparseL30bellmm_general_blockdim_kernelILi32ELi32EdidddEEv20rocsparse_operation_S1_20rocsparse_direction_T2_S3_NS_24const_host_device_scalarIT1_EES3_S3_PKS3_PKT3_PKT4_l16rocsparse_order_S6_PT5_lSF_21rocsparse_index_base_b
	.p2align	8
	.type	_ZN9rocsparseL30bellmm_general_blockdim_kernelILi32ELi32EdidddEEv20rocsparse_operation_S1_20rocsparse_direction_T2_S3_NS_24const_host_device_scalarIT1_EES3_S3_PKS3_PKT3_PKT4_l16rocsparse_order_S6_PT5_lSF_21rocsparse_index_base_b,@function
_ZN9rocsparseL30bellmm_general_blockdim_kernelILi32ELi32EdidddEEv20rocsparse_operation_S1_20rocsparse_direction_T2_S3_NS_24const_host_device_scalarIT1_EES3_S3_PKS3_PKT3_PKT4_l16rocsparse_order_S6_PT5_lSF_21rocsparse_index_base_b: ; @_ZN9rocsparseL30bellmm_general_blockdim_kernelILi32ELi32EdidddEEv20rocsparse_operation_S1_20rocsparse_direction_T2_S3_NS_24const_host_device_scalarIT1_EES3_S3_PKS3_PKT3_PKT4_l16rocsparse_order_S6_PT5_lSF_21rocsparse_index_base_b
; %bb.0:
	s_clause 0x2
	s_load_dwordx4 s[16:19], s[4:5], 0x68
	s_load_dwordx2 s[2:3], s[4:5], 0x18
	s_load_dwordx2 s[0:1], s[4:5], 0x50
	s_waitcnt lgkmcnt(0)
	s_bitcmp1_b32 s18, 0
	v_mov_b32_e32 v2, s2
	v_mov_b32_e32 v3, s3
	s_cselect_b32 s8, -1, 0
	s_and_b32 vcc_lo, exec_lo, s8
	s_xor_b32 s8, s8, -1
	s_cbranch_vccnz .LBB4_2
; %bb.1:
	v_mov_b32_e32 v2, s2
	v_mov_b32_e32 v3, s3
	flat_load_dwordx2 v[2:3], v[2:3]
.LBB4_2:
	v_mov_b32_e32 v5, s1
	v_mov_b32_e32 v4, s0
	s_andn2_b32 vcc_lo, exec_lo, s8
	s_cbranch_vccnz .LBB4_4
; %bb.3:
	v_mov_b32_e32 v5, s1
	v_mov_b32_e32 v4, s0
	flat_load_dwordx2 v[4:5], v[4:5]
.LBB4_4:
	s_waitcnt vmcnt(0) lgkmcnt(0)
	v_cmp_neq_f64_e32 vcc_lo, 0, v[2:3]
	v_cmp_neq_f64_e64 s0, 1.0, v[4:5]
	s_or_b32 s0, vcc_lo, s0
	s_and_saveexec_b32 s1, s0
	s_cbranch_execz .LBB4_44
; %bb.5:
	s_clause 0x1
	s_load_dwordx4 s[20:23], s[4:5], 0x4
	s_load_dwordx2 s[2:3], s[4:5], 0x20
	s_mov_b32 s18, 0
	s_waitcnt lgkmcnt(0)
	s_cmp_lt_i32 s6, s22
	s_cselect_b32 s28, -1, 0
	s_cmp_ge_i32 s6, s22
	s_cbranch_scc1 .LBB4_7
; %bb.6:
	s_abs_i32 s0, s3
	s_abs_i32 s9, s2
	v_cvt_f32_u32_e32 v6, s0
	s_sub_i32 s8, 0, s0
	s_xor_b32 s2, s2, s3
	s_ashr_i32 s2, s2, 31
	v_rcp_iflag_f32_e32 v6, v6
	v_mul_f32_e32 v6, 0x4f7ffffe, v6
	v_cvt_u32_f32_e32 v6, v6
	v_readfirstlane_b32 s1, v6
	s_mul_i32 s8, s8, s1
	s_mul_hi_u32 s8, s1, s8
	s_add_i32 s1, s1, s8
	s_mul_hi_u32 s1, s9, s1
	s_mul_i32 s8, s1, s0
	s_sub_i32 s8, s9, s8
	s_add_i32 s9, s1, 1
	s_sub_i32 s10, s8, s0
	s_cmp_ge_u32 s8, s0
	s_cselect_b32 s1, s9, s1
	s_cselect_b32 s8, s10, s8
	s_add_i32 s9, s1, 1
	s_cmp_ge_u32 s8, s0
	s_cselect_b32 s0, s9, s1
	s_xor_b32 s0, s0, s2
	s_sub_i32 s18, s0, s2
.LBB4_7:
	s_cmp_lt_i32 s3, 1
	s_cbranch_scc1 .LBB4_44
; %bb.8:
	s_load_dwordx8 s[8:15], s[4:5], 0x28
	v_lshl_add_u32 v6, s7, 5, v1
	s_clause 0x1
	s_load_dwordx4 s[24:27], s[4:5], 0x58
	s_load_dword s2, s[4:5], 0x48
	v_cmp_neq_f64_e64 s0, 0, v[4:5]
	s_mul_i32 s4, s3, s6
	v_lshlrev_b32_e32 v20, 3, v0
	v_ashrrev_i32_e32 v7, 31, v6
	s_cmp_gt_i32 s18, 0
	v_lshlrev_b32_e32 v21, 8, v1
	s_cselect_b32 s7, -1, 0
	s_cmpk_eq_i32 s20, 0x6f
	v_lshlrev_b64 v[8:9], 3, v[6:7]
	s_cselect_b32 s20, -1, 0
	v_or_b32_e32 v14, 0x2000, v20
	v_cmp_gt_i32_e64 s1, s23, v6
	v_add_nc_u32_e32 v28, v20, v21
	v_add_nc_u32_e32 v29, 0x800, v20
	;; [unrolled: 1-line block ×5, first 2 shown]
	s_waitcnt lgkmcnt(0)
	v_mul_lo_u32 v12, s14, v7
	v_mul_lo_u32 v13, s15, v6
	v_mad_u64_u32 v[10:11], null, s14, v6, 0
	v_add_co_u32 v22, vcc_lo, s12, v8
	v_add_co_ci_u32_e64 v23, null, s13, v9, vcc_lo
	v_mad_u64_u32 v[8:9], null, s26, v6, 0
	v_add3_u32 v11, v11, v12, v13
	v_mul_lo_u32 v12, s26, v7
	v_mul_lo_u32 v13, s27, v6
	s_cmp_lg_u32 s2, 1
	s_mov_b32 s5, 0
	v_lshlrev_b64 v[10:11], 3, v[10:11]
	s_cselect_b32 s2, -1, 0
	s_cmp_lg_u32 s21, 0
	s_cselect_b32 s19, -1, 0
	s_cmp_lg_u32 s16, 1
	v_add_co_u32 v24, vcc_lo, s12, v10
	v_add_nc_u32_e32 v10, s4, v1
	v_add_co_ci_u32_e64 v25, null, s13, v11, vcc_lo
	v_add3_u32 v9, v9, v12, v13
	v_mov_b32_e32 v11, 0
	v_mul_lo_u32 v26, s3, v10
	s_cselect_b32 s12, -1, 0
	s_xor_b32 s2, s20, s2
	s_mul_i32 s20, s3, s3
	s_and_b32 s13, s28, s1
	s_xor_b32 s16, s2, -1
	s_mul_i32 s20, s20, s22
	s_lshl_b32 s21, s3, 5
	s_branch .LBB4_10
.LBB4_9:                                ;   in Loop: Header=BB4_10 Depth=1
	s_or_b32 exec_lo, exec_lo, s2
	v_add_nc_u32_e32 v26, 32, v26
	s_add_i32 s5, s5, 32
	s_cmp_lt_i32 s5, s3
	s_cbranch_scc0 .LBB4_44
.LBB4_10:                               ; =>This Loop Header: Depth=1
                                        ;     Child Loop BB4_13 Depth 2
                                        ;       Child Loop BB4_15 Depth 3
	v_add_nc_u32_e32 v12, s5, v0
	v_mov_b32_e32 v15, 0
	v_mov_b32_e32 v16, 0
	s_andn2_b32 vcc_lo, exec_lo, s7
	v_cmp_gt_i32_e64 s2, s3, v12
	s_cbranch_vccnz .LBB4_35
; %bb.11:                               ;   in Loop: Header=BB4_10 Depth=1
	v_mov_b32_e32 v32, v26
	s_mov_b32 s23, 0
	s_branch .LBB4_13
.LBB4_12:                               ;   in Loop: Header=BB4_13 Depth=2
	v_add_nc_u32_e32 v32, s20, v32
	s_add_i32 s23, s23, 1
	s_cmp_eq_u32 s23, s18
	s_cbranch_scc1 .LBB4_35
.LBB4_13:                               ;   Parent Loop BB4_10 Depth=1
                                        ; =>  This Loop Header: Depth=2
                                        ;       Child Loop BB4_15 Depth 3
	s_mul_i32 s28, s23, s22
	s_add_i32 s28, s28, s6
	s_ashr_i32 s29, s28, 31
	v_mad_u64_u32 v[13:14], null, s28, s3, v[12:13]
	s_lshl_b64 s[30:31], s[28:29], 2
	s_add_u32 s30, s8, s30
	s_addc_u32 s31, s9, s31
	s_load_dword s29, s[30:31], 0x0
	v_mul_lo_u32 v33, v13, s3
	s_mov_b32 s30, 0
	s_waitcnt lgkmcnt(0)
	s_sub_i32 s28, s29, s17
	s_mov_b32 s29, 0
	v_mad_u64_u32 v[13:14], null, s28, s3, v[0:1]
	v_add_nc_u32_e32 v14, v0, v32
	s_cmp_gt_i32 s28, -1
	s_cselect_b32 s28, -1, 0
	s_branch .LBB4_15
.LBB4_14:                               ;   in Loop: Header=BB4_15 Depth=3
	s_add_i32 s30, s30, 32
	s_add_i32 s29, s29, s21
	s_cmp_ge_i32 s30, s3
	s_barrier
	buffer_gl0_inv
	s_cbranch_scc1 .LBB4_12
.LBB4_15:                               ;   Parent Loop BB4_10 Depth=1
                                        ;     Parent Loop BB4_13 Depth=2
                                        ; =>    This Inner Loop Header: Depth=3
	v_add_nc_u32_e32 v10, s30, v0
	s_mov_b32 s33, -1
                                        ; implicit-def: $vgpr17_vgpr18
	v_cmp_gt_i32_e32 vcc_lo, s3, v10
	s_and_b32 s31, s1, vcc_lo
	s_and_b32 vcc_lo, exec_lo, s16
	s_and_b32 s31, s31, s28
	s_cbranch_vccz .LBB4_19
; %bb.16:                               ;   in Loop: Header=BB4_15 Depth=3
	v_mov_b32_e32 v17, 0
	v_mov_b32_e32 v18, 0
	s_and_saveexec_b32 s33, s31
	s_cbranch_execz .LBB4_18
; %bb.17:                               ;   in Loop: Header=BB4_15 Depth=3
	v_add_nc_u32_e32 v19, s30, v13
	v_mad_u64_u32 v[17:18], null, s14, v19, 0
	v_mov_b32_e32 v10, v18
	v_mad_u64_u32 v[18:19], null, s15, v19, v[10:11]
	v_lshlrev_b64 v[17:18], 3, v[17:18]
	v_add_co_u32 v17, vcc_lo, v22, v17
	v_add_co_ci_u32_e64 v18, null, v23, v18, vcc_lo
	global_load_dwordx2 v[17:18], v[17:18], off
.LBB4_18:                               ;   in Loop: Header=BB4_15 Depth=3
	s_or_b32 exec_lo, exec_lo, s33
	s_mov_b32 s33, 0
.LBB4_19:                               ;   in Loop: Header=BB4_15 Depth=3
	s_andn2_b32 vcc_lo, exec_lo, s33
	s_cbranch_vccnz .LBB4_23
; %bb.20:                               ;   in Loop: Header=BB4_15 Depth=3
	s_waitcnt vmcnt(0)
	v_mov_b32_e32 v17, 0
	v_mov_b32_e32 v18, 0
	s_and_saveexec_b32 s33, s31
	s_cbranch_execz .LBB4_22
; %bb.21:                               ;   in Loop: Header=BB4_15 Depth=3
	v_add_nc_u32_e32 v10, s30, v13
	v_lshlrev_b64 v[17:18], 3, v[10:11]
	v_add_co_u32 v17, vcc_lo, v24, v17
	v_add_co_ci_u32_e64 v18, null, v25, v18, vcc_lo
	global_load_dwordx2 v[17:18], v[17:18], off
.LBB4_22:                               ;   in Loop: Header=BB4_15 Depth=3
	s_or_b32 exec_lo, exec_lo, s33
.LBB4_23:                               ;   in Loop: Header=BB4_15 Depth=3
	v_add_nc_u32_e32 v10, s30, v1
	s_waitcnt vmcnt(0)
	ds_write_b64 v27, v[17:18]
	v_cmp_gt_i32_e32 vcc_lo, s3, v10
	s_and_b32 s31, s2, vcc_lo
	s_and_b32 vcc_lo, exec_lo, s19
	s_and_b32 s33, s31, s28
	s_cbranch_vccz .LBB4_31
; %bb.24:                               ;   in Loop: Header=BB4_15 Depth=3
	s_mov_b32 s34, 0
	s_mov_b32 s31, 0
                                        ; implicit-def: $vgpr17
	s_and_saveexec_b32 s35, s33
	s_xor_b32 s35, exec_lo, s35
; %bb.25:                               ;   in Loop: Header=BB4_15 Depth=3
	s_mov_b32 s31, exec_lo
	v_add_nc_u32_e32 v17, s29, v14
; %bb.26:                               ;   in Loop: Header=BB4_15 Depth=3
	s_or_b32 exec_lo, exec_lo, s35
	s_and_b32 vcc_lo, exec_lo, s34
	s_cbranch_vccnz .LBB4_32
.LBB4_27:                               ;   in Loop: Header=BB4_15 Depth=3
	v_mov_b32_e32 v18, 0
	v_mov_b32_e32 v19, 0
	s_and_saveexec_b32 s33, s31
	s_cbranch_execz .LBB4_29
.LBB4_28:                               ;   in Loop: Header=BB4_15 Depth=3
	v_ashrrev_i32_e32 v18, 31, v17
	v_lshlrev_b64 v[17:18], 3, v[17:18]
	v_add_co_u32 v17, vcc_lo, s10, v17
	v_add_co_ci_u32_e64 v18, null, s11, v18, vcc_lo
	global_load_dwordx2 v[18:19], v[17:18], off
.LBB4_29:                               ;   in Loop: Header=BB4_15 Depth=3
	s_or_b32 exec_lo, exec_lo, s33
	s_andn2_b32 vcc_lo, exec_lo, s28
	s_waitcnt vmcnt(0)
	ds_write_b64 v28, v[18:19]
	s_waitcnt lgkmcnt(0)
	s_barrier
	buffer_gl0_inv
	s_cbranch_vccnz .LBB4_14
; %bb.30:                               ;   in Loop: Header=BB4_15 Depth=3
	ds_read2_b64 v[34:37], v20 offset1:32
	ds_read_b128 v[38:41], v21 offset:8192
	ds_read_b128 v[42:45], v21 offset:8208
	s_waitcnt lgkmcnt(1)
	v_fma_f64 v[15:16], v[34:35], v[38:39], v[15:16]
	v_fma_f64 v[34:35], v[36:37], v[40:41], v[15:16]
	ds_read2_b64 v[15:18], v20 offset0:64 offset1:96
	s_waitcnt lgkmcnt(0)
	v_fma_f64 v[15:16], v[15:16], v[42:43], v[34:35]
	v_fma_f64 v[42:43], v[17:18], v[44:45], v[15:16]
	ds_read2_b64 v[15:18], v20 offset0:128 offset1:160
	ds_read_b128 v[34:37], v21 offset:8224
	ds_read_b128 v[38:41], v21 offset:8240
	s_waitcnt lgkmcnt(1)
	v_fma_f64 v[15:16], v[15:16], v[34:35], v[42:43]
	v_fma_f64 v[34:35], v[17:18], v[36:37], v[15:16]
	ds_read2_b64 v[15:18], v20 offset0:192 offset1:224
	s_waitcnt lgkmcnt(0)
	v_fma_f64 v[15:16], v[15:16], v[38:39], v[34:35]
	v_fma_f64 v[42:43], v[17:18], v[40:41], v[15:16]
	ds_read2_b64 v[15:18], v29 offset1:32
	ds_read_b128 v[34:37], v21 offset:8256
	ds_read_b128 v[38:41], v21 offset:8272
	s_waitcnt lgkmcnt(1)
	v_fma_f64 v[15:16], v[15:16], v[34:35], v[42:43]
	v_fma_f64 v[34:35], v[17:18], v[36:37], v[15:16]
	ds_read2_b64 v[15:18], v29 offset0:64 offset1:96
	s_waitcnt lgkmcnt(0)
	v_fma_f64 v[15:16], v[15:16], v[38:39], v[34:35]
	v_fma_f64 v[42:43], v[17:18], v[40:41], v[15:16]
	ds_read2_b64 v[15:18], v29 offset0:128 offset1:160
	ds_read_b128 v[34:37], v21 offset:8288
	ds_read_b128 v[38:41], v21 offset:8304
	s_waitcnt lgkmcnt(1)
	v_fma_f64 v[15:16], v[15:16], v[34:35], v[42:43]
	v_fma_f64 v[34:35], v[17:18], v[36:37], v[15:16]
	ds_read2_b64 v[15:18], v29 offset0:192 offset1:224
	s_waitcnt lgkmcnt(0)
	v_fma_f64 v[15:16], v[15:16], v[38:39], v[34:35]
	v_fma_f64 v[42:43], v[17:18], v[40:41], v[15:16]
	;; [unrolled: 20-line block ×4, first 2 shown]
	s_branch .LBB4_14
.LBB4_31:                               ;   in Loop: Header=BB4_15 Depth=3
	s_mov_b32 s31, 0
                                        ; implicit-def: $vgpr17
	s_cbranch_execz .LBB4_27
.LBB4_32:                               ;   in Loop: Header=BB4_15 Depth=3
                                        ; implicit-def: $vgpr17
	s_and_saveexec_b32 s34, s33
; %bb.33:                               ;   in Loop: Header=BB4_15 Depth=3
	v_add_nc_u32_e32 v17, v10, v33
	s_or_b32 s31, s31, exec_lo
; %bb.34:                               ;   in Loop: Header=BB4_15 Depth=3
	s_or_b32 exec_lo, exec_lo, s34
	v_mov_b32_e32 v18, 0
	v_mov_b32_e32 v19, 0
	s_and_saveexec_b32 s33, s31
	s_cbranch_execnz .LBB4_28
	s_branch .LBB4_29
.LBB4_35:                               ;   in Loop: Header=BB4_10 Depth=1
	v_add_nc_u32_e32 v10, s4, v12
	s_and_b32 vcc_lo, exec_lo, s12
	s_mov_b32 s2, -1
                                        ; implicit-def: $vgpr13_vgpr14
	v_ashrrev_i32_e32 v17, 31, v10
	s_cbranch_vccnz .LBB4_38
; %bb.36:                               ;   in Loop: Header=BB4_10 Depth=1
	s_andn2_b32 vcc_lo, exec_lo, s2
	s_cbranch_vccz .LBB4_39
.LBB4_37:                               ;   in Loop: Header=BB4_10 Depth=1
	v_cmp_gt_i32_e32 vcc_lo, s3, v12
	s_and_b32 s23, s13, vcc_lo
	s_and_saveexec_b32 s2, s23
	s_cbranch_execz .LBB4_9
	s_branch .LBB4_40
.LBB4_38:                               ;   in Loop: Header=BB4_10 Depth=1
	v_mad_u64_u32 v[13:14], null, s26, v10, v[6:7]
	v_mul_lo_u32 v18, s26, v17
	v_mul_lo_u32 v19, s27, v10
	v_add3_u32 v14, v19, v14, v18
	s_cbranch_execnz .LBB4_37
.LBB4_39:                               ;   in Loop: Header=BB4_10 Depth=1
	v_add_co_u32 v13, vcc_lo, v8, v10
	v_add_co_ci_u32_e64 v14, null, v9, v17, vcc_lo
	v_cmp_gt_i32_e32 vcc_lo, s3, v12
	s_and_b32 s23, s13, vcc_lo
	s_and_saveexec_b32 s2, s23
	s_cbranch_execz .LBB4_9
.LBB4_40:                               ;   in Loop: Header=BB4_10 Depth=1
	v_mul_f64 v[15:16], v[2:3], v[15:16]
	v_lshlrev_b64 v[12:13], 3, v[13:14]
	s_and_saveexec_b32 s23, s0
	s_xor_b32 s23, exec_lo, s23
	s_cbranch_execz .LBB4_42
; %bb.41:                               ;   in Loop: Header=BB4_10 Depth=1
	v_add_co_u32 v12, vcc_lo, s24, v12
	v_add_co_ci_u32_e64 v13, null, s25, v13, vcc_lo
	global_load_dwordx2 v[17:18], v[12:13], off
	s_waitcnt vmcnt(0)
	v_fma_f64 v[14:15], v[4:5], v[17:18], v[15:16]
	global_store_dwordx2 v[12:13], v[14:15], off
                                        ; implicit-def: $vgpr12_vgpr13
                                        ; implicit-def: $vgpr15_vgpr16
.LBB4_42:                               ;   in Loop: Header=BB4_10 Depth=1
	s_andn2_saveexec_b32 s23, s23
	s_cbranch_execz .LBB4_9
; %bb.43:                               ;   in Loop: Header=BB4_10 Depth=1
	v_add_co_u32 v12, vcc_lo, s24, v12
	v_add_co_ci_u32_e64 v13, null, s25, v13, vcc_lo
	global_store_dwordx2 v[12:13], v[15:16], off
	s_branch .LBB4_9
.LBB4_44:
	s_endpgm
	.section	.rodata,"a",@progbits
	.p2align	6, 0x0
	.amdhsa_kernel _ZN9rocsparseL30bellmm_general_blockdim_kernelILi32ELi32EdidddEEv20rocsparse_operation_S1_20rocsparse_direction_T2_S3_NS_24const_host_device_scalarIT1_EES3_S3_PKS3_PKT3_PKT4_l16rocsparse_order_S6_PT5_lSF_21rocsparse_index_base_b
		.amdhsa_group_segment_fixed_size 16384
		.amdhsa_private_segment_fixed_size 0
		.amdhsa_kernarg_size 116
		.amdhsa_user_sgpr_count 6
		.amdhsa_user_sgpr_private_segment_buffer 1
		.amdhsa_user_sgpr_dispatch_ptr 0
		.amdhsa_user_sgpr_queue_ptr 0
		.amdhsa_user_sgpr_kernarg_segment_ptr 1
		.amdhsa_user_sgpr_dispatch_id 0
		.amdhsa_user_sgpr_flat_scratch_init 0
		.amdhsa_user_sgpr_private_segment_size 0
		.amdhsa_wavefront_size32 1
		.amdhsa_uses_dynamic_stack 0
		.amdhsa_system_sgpr_private_segment_wavefront_offset 0
		.amdhsa_system_sgpr_workgroup_id_x 1
		.amdhsa_system_sgpr_workgroup_id_y 1
		.amdhsa_system_sgpr_workgroup_id_z 0
		.amdhsa_system_sgpr_workgroup_info 0
		.amdhsa_system_vgpr_workitem_id 1
		.amdhsa_next_free_vgpr 46
		.amdhsa_next_free_sgpr 36
		.amdhsa_reserve_vcc 1
		.amdhsa_reserve_flat_scratch 0
		.amdhsa_float_round_mode_32 0
		.amdhsa_float_round_mode_16_64 0
		.amdhsa_float_denorm_mode_32 3
		.amdhsa_float_denorm_mode_16_64 3
		.amdhsa_dx10_clamp 1
		.amdhsa_ieee_mode 1
		.amdhsa_fp16_overflow 0
		.amdhsa_workgroup_processor_mode 1
		.amdhsa_memory_ordered 1
		.amdhsa_forward_progress 1
		.amdhsa_shared_vgpr_count 0
		.amdhsa_exception_fp_ieee_invalid_op 0
		.amdhsa_exception_fp_denorm_src 0
		.amdhsa_exception_fp_ieee_div_zero 0
		.amdhsa_exception_fp_ieee_overflow 0
		.amdhsa_exception_fp_ieee_underflow 0
		.amdhsa_exception_fp_ieee_inexact 0
		.amdhsa_exception_int_div_zero 0
	.end_amdhsa_kernel
	.section	.text._ZN9rocsparseL30bellmm_general_blockdim_kernelILi32ELi32EdidddEEv20rocsparse_operation_S1_20rocsparse_direction_T2_S3_NS_24const_host_device_scalarIT1_EES3_S3_PKS3_PKT3_PKT4_l16rocsparse_order_S6_PT5_lSF_21rocsparse_index_base_b,"axG",@progbits,_ZN9rocsparseL30bellmm_general_blockdim_kernelILi32ELi32EdidddEEv20rocsparse_operation_S1_20rocsparse_direction_T2_S3_NS_24const_host_device_scalarIT1_EES3_S3_PKS3_PKT3_PKT4_l16rocsparse_order_S6_PT5_lSF_21rocsparse_index_base_b,comdat
.Lfunc_end4:
	.size	_ZN9rocsparseL30bellmm_general_blockdim_kernelILi32ELi32EdidddEEv20rocsparse_operation_S1_20rocsparse_direction_T2_S3_NS_24const_host_device_scalarIT1_EES3_S3_PKS3_PKT3_PKT4_l16rocsparse_order_S6_PT5_lSF_21rocsparse_index_base_b, .Lfunc_end4-_ZN9rocsparseL30bellmm_general_blockdim_kernelILi32ELi32EdidddEEv20rocsparse_operation_S1_20rocsparse_direction_T2_S3_NS_24const_host_device_scalarIT1_EES3_S3_PKS3_PKT3_PKT4_l16rocsparse_order_S6_PT5_lSF_21rocsparse_index_base_b
                                        ; -- End function
	.set _ZN9rocsparseL30bellmm_general_blockdim_kernelILi32ELi32EdidddEEv20rocsparse_operation_S1_20rocsparse_direction_T2_S3_NS_24const_host_device_scalarIT1_EES3_S3_PKS3_PKT3_PKT4_l16rocsparse_order_S6_PT5_lSF_21rocsparse_index_base_b.num_vgpr, 46
	.set _ZN9rocsparseL30bellmm_general_blockdim_kernelILi32ELi32EdidddEEv20rocsparse_operation_S1_20rocsparse_direction_T2_S3_NS_24const_host_device_scalarIT1_EES3_S3_PKS3_PKT3_PKT4_l16rocsparse_order_S6_PT5_lSF_21rocsparse_index_base_b.num_agpr, 0
	.set _ZN9rocsparseL30bellmm_general_blockdim_kernelILi32ELi32EdidddEEv20rocsparse_operation_S1_20rocsparse_direction_T2_S3_NS_24const_host_device_scalarIT1_EES3_S3_PKS3_PKT3_PKT4_l16rocsparse_order_S6_PT5_lSF_21rocsparse_index_base_b.numbered_sgpr, 36
	.set _ZN9rocsparseL30bellmm_general_blockdim_kernelILi32ELi32EdidddEEv20rocsparse_operation_S1_20rocsparse_direction_T2_S3_NS_24const_host_device_scalarIT1_EES3_S3_PKS3_PKT3_PKT4_l16rocsparse_order_S6_PT5_lSF_21rocsparse_index_base_b.num_named_barrier, 0
	.set _ZN9rocsparseL30bellmm_general_blockdim_kernelILi32ELi32EdidddEEv20rocsparse_operation_S1_20rocsparse_direction_T2_S3_NS_24const_host_device_scalarIT1_EES3_S3_PKS3_PKT3_PKT4_l16rocsparse_order_S6_PT5_lSF_21rocsparse_index_base_b.private_seg_size, 0
	.set _ZN9rocsparseL30bellmm_general_blockdim_kernelILi32ELi32EdidddEEv20rocsparse_operation_S1_20rocsparse_direction_T2_S3_NS_24const_host_device_scalarIT1_EES3_S3_PKS3_PKT3_PKT4_l16rocsparse_order_S6_PT5_lSF_21rocsparse_index_base_b.uses_vcc, 1
	.set _ZN9rocsparseL30bellmm_general_blockdim_kernelILi32ELi32EdidddEEv20rocsparse_operation_S1_20rocsparse_direction_T2_S3_NS_24const_host_device_scalarIT1_EES3_S3_PKS3_PKT3_PKT4_l16rocsparse_order_S6_PT5_lSF_21rocsparse_index_base_b.uses_flat_scratch, 0
	.set _ZN9rocsparseL30bellmm_general_blockdim_kernelILi32ELi32EdidddEEv20rocsparse_operation_S1_20rocsparse_direction_T2_S3_NS_24const_host_device_scalarIT1_EES3_S3_PKS3_PKT3_PKT4_l16rocsparse_order_S6_PT5_lSF_21rocsparse_index_base_b.has_dyn_sized_stack, 0
	.set _ZN9rocsparseL30bellmm_general_blockdim_kernelILi32ELi32EdidddEEv20rocsparse_operation_S1_20rocsparse_direction_T2_S3_NS_24const_host_device_scalarIT1_EES3_S3_PKS3_PKT3_PKT4_l16rocsparse_order_S6_PT5_lSF_21rocsparse_index_base_b.has_recursion, 0
	.set _ZN9rocsparseL30bellmm_general_blockdim_kernelILi32ELi32EdidddEEv20rocsparse_operation_S1_20rocsparse_direction_T2_S3_NS_24const_host_device_scalarIT1_EES3_S3_PKS3_PKT3_PKT4_l16rocsparse_order_S6_PT5_lSF_21rocsparse_index_base_b.has_indirect_call, 0
	.section	.AMDGPU.csdata,"",@progbits
; Kernel info:
; codeLenInByte = 1992
; TotalNumSgprs: 38
; NumVgprs: 46
; ScratchSize: 0
; MemoryBound: 0
; FloatMode: 240
; IeeeMode: 1
; LDSByteSize: 16384 bytes/workgroup (compile time only)
; SGPRBlocks: 0
; VGPRBlocks: 5
; NumSGPRsForWavesPerEU: 38
; NumVGPRsForWavesPerEU: 46
; Occupancy: 16
; WaveLimiterHint : 1
; COMPUTE_PGM_RSRC2:SCRATCH_EN: 0
; COMPUTE_PGM_RSRC2:USER_SGPR: 6
; COMPUTE_PGM_RSRC2:TRAP_HANDLER: 0
; COMPUTE_PGM_RSRC2:TGID_X_EN: 1
; COMPUTE_PGM_RSRC2:TGID_Y_EN: 1
; COMPUTE_PGM_RSRC2:TGID_Z_EN: 0
; COMPUTE_PGM_RSRC2:TIDIG_COMP_CNT: 1
	.section	.text._ZN9rocsparseL30bellmm_general_blockdim_kernelILi32ELi32EdldddEEv20rocsparse_operation_S1_20rocsparse_direction_T2_S3_NS_24const_host_device_scalarIT1_EES3_S3_PKS3_PKT3_PKT4_l16rocsparse_order_S6_PT5_lSF_21rocsparse_index_base_b,"axG",@progbits,_ZN9rocsparseL30bellmm_general_blockdim_kernelILi32ELi32EdldddEEv20rocsparse_operation_S1_20rocsparse_direction_T2_S3_NS_24const_host_device_scalarIT1_EES3_S3_PKS3_PKT3_PKT4_l16rocsparse_order_S6_PT5_lSF_21rocsparse_index_base_b,comdat
	.globl	_ZN9rocsparseL30bellmm_general_blockdim_kernelILi32ELi32EdldddEEv20rocsparse_operation_S1_20rocsparse_direction_T2_S3_NS_24const_host_device_scalarIT1_EES3_S3_PKS3_PKT3_PKT4_l16rocsparse_order_S6_PT5_lSF_21rocsparse_index_base_b ; -- Begin function _ZN9rocsparseL30bellmm_general_blockdim_kernelILi32ELi32EdldddEEv20rocsparse_operation_S1_20rocsparse_direction_T2_S3_NS_24const_host_device_scalarIT1_EES3_S3_PKS3_PKT3_PKT4_l16rocsparse_order_S6_PT5_lSF_21rocsparse_index_base_b
	.p2align	8
	.type	_ZN9rocsparseL30bellmm_general_blockdim_kernelILi32ELi32EdldddEEv20rocsparse_operation_S1_20rocsparse_direction_T2_S3_NS_24const_host_device_scalarIT1_EES3_S3_PKS3_PKT3_PKT4_l16rocsparse_order_S6_PT5_lSF_21rocsparse_index_base_b,@function
_ZN9rocsparseL30bellmm_general_blockdim_kernelILi32ELi32EdldddEEv20rocsparse_operation_S1_20rocsparse_direction_T2_S3_NS_24const_host_device_scalarIT1_EES3_S3_PKS3_PKT3_PKT4_l16rocsparse_order_S6_PT5_lSF_21rocsparse_index_base_b: ; @_ZN9rocsparseL30bellmm_general_blockdim_kernelILi32ELi32EdldddEEv20rocsparse_operation_S1_20rocsparse_direction_T2_S3_NS_24const_host_device_scalarIT1_EES3_S3_PKS3_PKT3_PKT4_l16rocsparse_order_S6_PT5_lSF_21rocsparse_index_base_b
; %bb.0:
	s_clause 0x2
	s_load_dwordx4 s[24:27], s[4:5], 0x78
	s_load_dwordx8 s[8:15], s[4:5], 0x10
	s_load_dwordx2 s[2:3], s[4:5], 0x60
	v_mov_b32_e32 v2, v1
	s_mov_b32 s0, s7
	s_waitcnt lgkmcnt(0)
	s_bitcmp1_b32 s26, 0
	v_mov_b32_e32 v3, s12
	v_mov_b32_e32 v4, s13
	s_cselect_b32 s1, -1, 0
	s_and_b32 vcc_lo, exec_lo, s1
	s_xor_b32 s1, s1, -1
	s_cbranch_vccnz .LBB5_2
; %bb.1:
	v_mov_b32_e32 v3, s12
	v_mov_b32_e32 v4, s13
	flat_load_dwordx2 v[3:4], v[3:4]
.LBB5_2:
	v_mov_b32_e32 v6, s3
	v_mov_b32_e32 v5, s2
	s_andn2_b32 vcc_lo, exec_lo, s1
	s_cbranch_vccnz .LBB5_4
; %bb.3:
	v_mov_b32_e32 v6, s3
	v_mov_b32_e32 v5, s2
	flat_load_dwordx2 v[5:6], v[5:6]
.LBB5_4:
	s_waitcnt vmcnt(0) lgkmcnt(0)
	v_cmp_neq_f64_e32 vcc_lo, 0, v[3:4]
	v_cmp_neq_f64_e64 s1, 1.0, v[5:6]
	s_mov_b64 s[28:29], 0
	s_or_b32 s1, vcc_lo, s1
	s_and_saveexec_b32 s2, s1
	s_cbranch_execz .LBB5_44
; %bb.5:
	s_load_dwordx2 s[26:27], s[4:5], 0x30
	s_mov_b32 s7, 0
	v_cmp_le_i64_e64 s2, s[8:9], s[6:7]
	v_cmp_gt_i64_e64 s1, s[8:9], s[6:7]
	s_and_b32 vcc_lo, exec_lo, s2
	s_cbranch_vccnz .LBB5_9
; %bb.6:
	s_waitcnt lgkmcnt(0)
	s_or_b64 s[2:3], s[14:15], s[26:27]
	s_mov_b32 s2, s7
	s_cmp_lg_u64 s[2:3], 0
	s_cbranch_scc0 .LBB5_45
; %bb.7:
	s_ashr_i32 s2, s27, 31
	s_add_u32 s12, s26, s2
	s_mov_b32 s3, s2
	s_addc_u32 s13, s27, s2
	s_xor_b64 s[12:13], s[12:13], s[2:3]
	v_cvt_f32_u32_e32 v1, s12
	v_cvt_f32_u32_e32 v7, s13
	s_sub_u32 s17, 0, s12
	s_subb_u32 s18, 0, s13
	v_fmamk_f32 v1, v7, 0x4f800000, v1
	v_rcp_f32_e32 v1, v1
	v_mul_f32_e32 v1, 0x5f7ffffc, v1
	v_mul_f32_e32 v7, 0x2f800000, v1
	v_trunc_f32_e32 v7, v7
	v_fmamk_f32 v1, v7, 0xcf800000, v1
	v_cvt_u32_f32_e32 v7, v7
	v_cvt_u32_f32_e32 v1, v1
	v_readfirstlane_b32 s7, v7
	v_readfirstlane_b32 s16, v1
	s_mul_i32 s19, s17, s7
	s_mul_hi_u32 s21, s17, s16
	s_mul_i32 s20, s18, s16
	s_add_i32 s19, s21, s19
	s_mul_i32 s22, s17, s16
	s_add_i32 s19, s19, s20
	s_mul_hi_u32 s21, s16, s22
	s_mul_i32 s28, s16, s19
	s_mul_hi_u32 s23, s7, s22
	s_mul_i32 s20, s7, s22
	s_mul_hi_u32 s22, s16, s19
	s_add_u32 s21, s21, s28
	s_addc_u32 s22, 0, s22
	s_mul_hi_u32 s29, s7, s19
	s_add_u32 s20, s21, s20
	s_mul_i32 s19, s7, s19
	s_addc_u32 s20, s22, s23
	s_addc_u32 s21, s29, 0
	s_add_u32 s19, s20, s19
	s_addc_u32 s20, 0, s21
	s_add_u32 s16, s16, s19
	s_cselect_b32 s19, -1, 0
	s_mul_hi_u32 s21, s17, s16
	s_cmp_lg_u32 s19, 0
	s_mul_i32 s19, s17, s16
	s_addc_u32 s7, s7, s20
	s_mul_i32 s18, s18, s16
	s_mul_i32 s17, s17, s7
	s_mul_hi_u32 s20, s16, s19
	s_add_i32 s17, s21, s17
	s_mul_hi_u32 s21, s7, s19
	s_add_i32 s17, s17, s18
	s_mul_i32 s18, s7, s19
	s_mul_i32 s23, s16, s17
	s_mul_hi_u32 s22, s16, s17
	s_add_u32 s20, s20, s23
	s_addc_u32 s22, 0, s22
	s_mul_hi_u32 s19, s7, s17
	s_add_u32 s18, s20, s18
	s_mul_i32 s17, s7, s17
	s_addc_u32 s18, s22, s21
	s_addc_u32 s19, s19, 0
	s_add_u32 s17, s18, s17
	s_addc_u32 s18, 0, s19
	s_add_u32 s20, s16, s17
	s_cselect_b32 s16, -1, 0
	s_cmp_lg_u32 s16, 0
	s_addc_u32 s7, s7, s18
	s_ashr_i32 s16, s15, 31
	s_add_u32 s18, s14, s16
	s_mov_b32 s17, s16
	s_addc_u32 s19, s15, s16
	s_xor_b64 s[18:19], s[18:19], s[16:17]
	s_mul_i32 s21, s18, s7
	s_mul_hi_u32 s22, s18, s20
	s_mul_hi_u32 s15, s18, s7
	;; [unrolled: 1-line block ×3, first 2 shown]
	s_mul_i32 s20, s19, s20
	s_add_u32 s21, s22, s21
	s_addc_u32 s15, 0, s15
	s_mul_hi_u32 s23, s19, s7
	s_add_u32 s20, s21, s20
	s_mul_i32 s7, s19, s7
	s_addc_u32 s15, s15, s28
	s_addc_u32 s20, s23, 0
	s_add_u32 s7, s15, s7
	s_addc_u32 s15, 0, s20
	s_mul_hi_u32 s20, s12, s7
	s_mul_i32 s21, s12, s15
	s_mul_i32 s22, s13, s7
	s_add_i32 s20, s20, s21
	s_mul_i32 s21, s12, s7
	s_add_i32 s20, s20, s22
	s_sub_i32 s22, s19, s20
	s_sub_u32 s18, s18, s21
	s_cselect_b32 s21, -1, 0
	s_cmp_lg_u32 s21, 0
	s_subb_u32 s22, s22, s13
	s_sub_u32 s23, s18, s12
	s_cselect_b32 s28, -1, 0
	s_cmp_lg_u32 s28, 0
	s_subb_u32 s22, s22, 0
	s_cmp_ge_u32 s22, s13
	s_cselect_b32 s28, -1, 0
	s_cmp_ge_u32 s23, s12
	s_cselect_b32 s23, -1, 0
	s_cmp_eq_u32 s22, s13
	s_cselect_b32 s22, s23, s28
	s_add_u32 s23, s7, 1
	s_addc_u32 s28, s15, 0
	s_add_u32 s29, s7, 2
	s_addc_u32 s30, s15, 0
	s_cmp_lg_u32 s22, 0
	s_cselect_b32 s22, s29, s23
	s_cselect_b32 s23, s30, s28
	s_cmp_lg_u32 s21, 0
	s_subb_u32 s19, s19, s20
	s_cmp_ge_u32 s19, s13
	s_cselect_b32 s20, -1, 0
	s_cmp_ge_u32 s18, s12
	s_cselect_b32 s12, -1, 0
	s_cmp_eq_u32 s19, s13
	s_cselect_b32 s12, s12, s20
	s_cmp_lg_u32 s12, 0
	s_cselect_b32 s13, s23, s15
	s_cselect_b32 s12, s22, s7
	s_xor_b64 s[16:17], s[16:17], s[2:3]
	s_xor_b64 s[12:13], s[12:13], s[16:17]
	s_sub_u32 s28, s12, s16
	s_subb_u32 s29, s13, s17
	s_cbranch_execnz .LBB5_9
.LBB5_8:
	v_cvt_f32_u32_e32 v1, s26
	s_sub_i32 s3, 0, s26
	s_mov_b32 s29, 0
	v_rcp_iflag_f32_e32 v1, v1
	v_mul_f32_e32 v1, 0x4f7ffffe, v1
	v_cvt_u32_f32_e32 v1, v1
	v_readfirstlane_b32 s2, v1
	s_mul_i32 s3, s3, s2
	s_mul_hi_u32 s3, s2, s3
	s_add_i32 s2, s2, s3
	s_mul_hi_u32 s2, s14, s2
	s_mul_i32 s3, s2, s26
	s_add_i32 s7, s2, 1
	s_sub_i32 s3, s14, s3
	s_sub_i32 s12, s3, s26
	s_cmp_ge_u32 s3, s26
	s_cselect_b32 s2, s7, s2
	s_cselect_b32 s3, s12, s3
	s_add_i32 s7, s2, 1
	s_cmp_ge_u32 s3, s26
	s_cselect_b32 s28, s7, s2
.LBB5_9:
	s_waitcnt lgkmcnt(0)
	v_cmp_lt_i64_e64 s2, s[26:27], 1
	s_and_b32 vcc_lo, exec_lo, s2
	s_cbranch_vccnz .LBB5_44
; %bb.10:
	s_clause 0x3
	s_load_dwordx2 s[34:35], s[4:5], 0x4
	s_load_dword s2, s[4:5], 0x58
	s_load_dwordx4 s[20:23], s[4:5], 0x68
	s_load_dwordx8 s[12:19], s[4:5], 0x38
	s_lshl_b32 s0, s0, 5
	s_mul_i32 s5, s27, s6
	v_add_co_u32 v9, s0, s0, v2
	s_mul_hi_u32 s7, s26, s6
	v_add_co_ci_u32_e64 v10, null, 0, 0, s0
	s_add_i32 s5, s7, s5
	v_lshlrev_b32_e32 v7, 3, v0
	s_mul_i32 s4, s26, s6
	v_cmp_gt_i64_e64 s0, s[10:11], v[9:10]
	v_mov_b32_e32 v1, 0
	s_mov_b32 s3, s25
	v_or_b32_e32 v21, 0x2000, v7
	v_lshlrev_b32_e32 v39, 8, v2
	s_mul_i32 s36, s26, s26
	s_waitcnt lgkmcnt(0)
	s_cmpk_eq_i32 s34, 0x6f
	v_mov_b32_e32 v18, v1
	s_cselect_b32 s10, -1, 0
	s_cmp_lg_u32 s2, 1
	v_mul_lo_u32 v8, s23, v9
	v_mul_lo_u32 v15, s22, v10
	v_mad_u64_u32 v[11:12], null, s22, v9, 0
	s_cselect_b32 s2, -1, 0
	s_cmp_lg_u32 s35, 0
	v_mul_lo_u32 v16, s19, v9
	v_mul_lo_u32 v17, s18, v10
	v_mad_u64_u32 v[13:14], null, s18, v9, 0
	s_cselect_b32 s7, -1, 0
	s_cmp_lg_u32 s24, 1
	v_add3_u32 v12, v12, v15, v8
	s_cselect_b32 s33, -1, 0
	s_lshl_b64 s[24:25], s[4:5], 3
	s_xor_b32 s2, s10, s2
	v_add_co_u32 v8, s10, s24, v7
	v_add3_u32 v14, v14, v17, v16
	v_add_co_ci_u32_e64 v15, null, s25, 0, s10
	v_lshlrev_b32_e32 v17, 3, v2
	v_mul_lo_u32 v20, s27, v8
	v_lshlrev_b64 v[13:14], 3, v[13:14]
	v_mul_lo_u32 v19, s26, v15
	s_and_b32 s38, s1, s0
	v_mad_u64_u32 v[15:16], null, s26, v8, v[17:18]
	v_add_co_u32 v17, s24, s24, v17
	v_mov_b32_e32 v8, v1
	v_add_co_ci_u32_e64 v18, null, s25, 0, s24
	v_cmp_neq_f64_e64 s1, 0, v[5:6]
	v_add_co_u32 v13, vcc_lo, v13, v7
	v_add3_u32 v16, v20, v16, v19
	v_mul_lo_u32 v22, s26, v18
	v_mul_lo_u32 v23, s27, v17
	v_mad_u64_u32 v[19:20], null, s26, v17, v[7:8]
	v_add_co_ci_u32_e64 v14, null, 0, v14, vcc_lo
	v_lshlrev_b64 v[17:18], 3, v[9:10]
	v_add_co_u32 v13, vcc_lo, s16, v13
	s_xor_b32 s39, s2, -1
	s_mul_i32 s2, s26, s27
	s_mul_hi_u32 s34, s26, s26
	v_add_co_ci_u32_e64 v14, null, s17, v14, vcc_lo
	v_add_co_u32 v15, vcc_lo, s14, v15
	s_add_i32 s24, s34, s2
	v_add3_u32 v8, v23, v20, v22
	v_add_co_ci_u32_e64 v16, null, s15, v16, vcc_lo
	v_add_co_u32 v17, vcc_lo, s16, v17
	s_mul_i32 s25, s36, s9
	s_mul_hi_u32 s34, s36, s8
	s_add_i32 s2, s24, s2
	v_add_co_ci_u32_e64 v18, null, s17, v18, vcc_lo
	v_add_co_u32 v19, vcc_lo, s14, v19
	s_add_i32 s34, s34, s25
	s_mul_i32 s2, s2, s8
	v_cmp_gt_i64_e64 s40, s[28:29], 0
	v_add_co_ci_u32_e64 v20, null, s15, v8, vcc_lo
	v_add_nc_u32_e32 v8, v21, v39
	v_add_nc_u32_e32 v40, v7, v39
	;; [unrolled: 1-line block ×5, first 2 shown]
	s_add_i32 s35, s34, s2
	s_mul_i32 s34, s36, s8
	s_mov_b64 s[30:31], 0
	s_lshl_b64 s[10:11], s[26:27], 3
	s_lshl_b64 s[24:25], s[26:27], 8
	;; [unrolled: 1-line block ×5, first 2 shown]
	s_branch .LBB5_12
.LBB5_11:                               ;   in Loop: Header=BB5_12 Depth=1
	s_or_b32 exec_lo, exec_lo, s2
	s_add_u32 s30, s30, 32
	s_addc_u32 s31, s31, 0
	v_add_co_u32 v15, vcc_lo, v15, s24
	v_cmp_lt_i64_e64 s2, s[30:31], s[26:27]
	v_add_co_ci_u32_e64 v16, null, s25, v16, vcc_lo
	v_add_co_u32 v19, vcc_lo, 0x100, v19
	v_add_co_ci_u32_e64 v20, null, 0, v20, vcc_lo
	s_and_b32 vcc_lo, exec_lo, s2
	s_cbranch_vccz .LBB5_44
.LBB5_12:                               ; =>This Loop Header: Depth=1
                                        ;     Child Loop BB5_15 Depth 2
                                        ;       Child Loop BB5_17 Depth 3
	v_add_co_u32 v21, s2, s30, v0
	v_add_co_ci_u32_e64 v22, null, s31, 0, s2
	v_mov_b32_e32 v31, 0
	v_mov_b32_e32 v32, 0
	s_andn2_b32 vcc_lo, exec_lo, s40
	v_cmp_gt_i64_e64 s2, s[26:27], v[21:22]
	s_cbranch_vccnz .LBB5_35
; %bb.13:                               ;   in Loop: Header=BB5_12 Depth=1
	v_mov_b32_e32 v24, v20
	v_mov_b32_e32 v26, v16
	;; [unrolled: 1-line block ×4, first 2 shown]
	s_mov_b64 s[34:35], 0
	s_branch .LBB5_15
.LBB5_14:                               ;   in Loop: Header=BB5_15 Depth=2
	v_add_co_u32 v25, vcc_lo, v25, s14
	v_add_co_ci_u32_e64 v26, null, s15, v26, vcc_lo
	v_add_co_u32 v23, vcc_lo, v23, s14
	s_add_u32 s34, s34, 1
	v_add_co_ci_u32_e64 v24, null, s15, v24, vcc_lo
	s_addc_u32 s35, s35, 0
	s_cmp_eq_u64 s[34:35], s[28:29]
	s_cbranch_scc1 .LBB5_35
.LBB5_15:                               ;   Parent Loop BB5_12 Depth=1
                                        ; =>  This Loop Header: Depth=2
                                        ;       Child Loop BB5_17 Depth 3
	s_mul_i32 s36, s34, s9
	s_mul_hi_u32 s37, s34, s8
	s_mul_i32 s41, s34, s8
	s_add_i32 s36, s37, s36
	s_mul_i32 s37, s35, s8
	s_add_i32 s37, s36, s37
	s_add_u32 s36, s41, s6
	s_addc_u32 s37, s37, 0
	s_lshl_b64 s[36:37], s[36:37], 3
	s_add_u32 s36, s12, s36
	s_addc_u32 s37, s13, s37
	s_load_dwordx2 s[36:37], s[36:37], 0x0
	s_waitcnt lgkmcnt(0)
	s_sub_u32 s36, s36, s3
	s_subb_u32 s37, s37, 0
	v_mad_u64_u32 v[29:30], null, s36, s26, v[0:1]
	s_mul_i32 s41, s36, s27
	s_mul_i32 s42, s37, s26
	v_mad_u64_u32 v[27:28], null, s10, s36, v[13:14]
	s_mul_i32 s43, s10, s37
	v_add3_u32 v33, s41, s42, v30
	v_mul_lo_u32 v35, s17, v29
	v_mad_u64_u32 v[29:30], null, s16, v29, v[17:18]
	s_mul_i32 s42, s11, s36
	v_mul_lo_u32 v36, s16, v33
	v_mov_b32_e32 v34, v24
	v_cmp_gt_i64_e64 s41, s[36:37], -1
	v_mov_b32_e32 v33, v23
	v_add3_u32 v28, s43, s42, v28
	s_mov_b64 s[36:37], 0
	v_add3_u32 v30, v35, v30, v36
	v_mov_b32_e32 v36, v26
	v_mov_b32_e32 v35, v25
	s_branch .LBB5_17
.LBB5_16:                               ;   in Loop: Header=BB5_17 Depth=3
	v_add_co_u32 v27, vcc_lo, 0x100, v27
	s_add_u32 s36, s36, 32
	v_add_co_ci_u32_e64 v28, null, 0, v28, vcc_lo
	v_add_co_u32 v35, vcc_lo, 0x100, v35
	s_addc_u32 s37, s37, 0
	v_add_co_ci_u32_e64 v36, null, 0, v36, vcc_lo
	v_add_co_u32 v29, vcc_lo, v29, s18
	v_cmp_ge_i64_e64 s42, s[36:37], s[26:27]
	v_add_co_ci_u32_e64 v30, null, s19, v30, vcc_lo
	v_add_co_u32 v33, vcc_lo, v33, s24
	v_add_co_ci_u32_e64 v34, null, s25, v34, vcc_lo
	s_and_b32 vcc_lo, exec_lo, s42
	s_barrier
	buffer_gl0_inv
	s_cbranch_vccnz .LBB5_14
.LBB5_17:                               ;   Parent Loop BB5_12 Depth=1
                                        ;     Parent Loop BB5_15 Depth=2
                                        ; =>    This Inner Loop Header: Depth=3
	v_add_co_u32 v37, s42, v0, s36
	v_add_co_ci_u32_e64 v38, null, 0, s37, s42
	s_mov_b32 s43, -1
	v_cmp_gt_i64_e32 vcc_lo, s[26:27], v[37:38]
                                        ; implicit-def: $vgpr37_vgpr38
	s_and_b32 s42, s0, vcc_lo
	s_and_b32 vcc_lo, exec_lo, s39
	s_and_b32 s42, s42, s41
	s_cbranch_vccz .LBB5_21
; %bb.18:                               ;   in Loop: Header=BB5_17 Depth=3
	v_mov_b32_e32 v37, 0
	v_mov_b32_e32 v38, 0
	s_and_saveexec_b32 s43, s42
	s_cbranch_execz .LBB5_20
; %bb.19:                               ;   in Loop: Header=BB5_17 Depth=3
	global_load_dwordx2 v[37:38], v[29:30], off
.LBB5_20:                               ;   in Loop: Header=BB5_17 Depth=3
	s_or_b32 exec_lo, exec_lo, s43
	s_mov_b32 s43, 0
.LBB5_21:                               ;   in Loop: Header=BB5_17 Depth=3
	s_andn2_b32 vcc_lo, exec_lo, s43
	s_cbranch_vccnz .LBB5_25
; %bb.22:                               ;   in Loop: Header=BB5_17 Depth=3
	s_waitcnt vmcnt(0)
	v_mov_b32_e32 v37, 0
	v_mov_b32_e32 v38, 0
	s_and_saveexec_b32 s43, s42
	s_cbranch_execz .LBB5_24
; %bb.23:                               ;   in Loop: Header=BB5_17 Depth=3
	global_load_dwordx2 v[37:38], v[27:28], off
.LBB5_24:                               ;   in Loop: Header=BB5_17 Depth=3
	s_or_b32 exec_lo, exec_lo, s43
.LBB5_25:                               ;   in Loop: Header=BB5_17 Depth=3
	v_add_co_u32 v44, s42, v2, s36
	v_add_co_ci_u32_e64 v45, null, 0, s37, s42
	s_waitcnt vmcnt(0)
	ds_write_b64 v8, v[37:38]
	v_cmp_gt_i64_e32 vcc_lo, s[26:27], v[44:45]
	s_and_b32 s42, s2, vcc_lo
	s_and_b32 vcc_lo, exec_lo, s7
	s_and_b32 s42, s42, s41
	s_cbranch_vccz .LBB5_29
; %bb.26:                               ;   in Loop: Header=BB5_17 Depth=3
	v_mov_b32_e32 v37, 0
	v_mov_b32_e32 v38, 0
	s_and_saveexec_b32 s43, s42
	s_cbranch_execz .LBB5_28
; %bb.27:                               ;   in Loop: Header=BB5_17 Depth=3
	global_load_dwordx2 v[37:38], v[33:34], off
.LBB5_28:                               ;   in Loop: Header=BB5_17 Depth=3
	s_or_b32 exec_lo, exec_lo, s43
	s_cbranch_execz .LBB5_30
	s_branch .LBB5_33
.LBB5_29:                               ;   in Loop: Header=BB5_17 Depth=3
                                        ; implicit-def: $vgpr37_vgpr38
.LBB5_30:                               ;   in Loop: Header=BB5_17 Depth=3
	s_waitcnt vmcnt(0)
	v_mov_b32_e32 v37, 0
	v_mov_b32_e32 v38, 0
	s_and_saveexec_b32 s43, s42
	s_cbranch_execz .LBB5_32
; %bb.31:                               ;   in Loop: Header=BB5_17 Depth=3
	global_load_dwordx2 v[37:38], v[35:36], off
.LBB5_32:                               ;   in Loop: Header=BB5_17 Depth=3
	s_or_b32 exec_lo, exec_lo, s43
.LBB5_33:                               ;   in Loop: Header=BB5_17 Depth=3
	s_andn2_b32 vcc_lo, exec_lo, s41
	s_waitcnt vmcnt(0)
	ds_write_b64 v40, v[37:38]
	s_waitcnt lgkmcnt(0)
	s_barrier
	buffer_gl0_inv
	s_cbranch_vccnz .LBB5_16
; %bb.34:                               ;   in Loop: Header=BB5_17 Depth=3
	ds_read2_b64 v[44:47], v7 offset1:32
	ds_read_b128 v[48:51], v39 offset:8192
	ds_read_b128 v[52:55], v39 offset:8208
	s_waitcnt lgkmcnt(1)
	v_fma_f64 v[31:32], v[44:45], v[48:49], v[31:32]
	v_fma_f64 v[31:32], v[46:47], v[50:51], v[31:32]
	ds_read2_b64 v[44:47], v7 offset0:64 offset1:96
	s_waitcnt lgkmcnt(0)
	v_fma_f64 v[31:32], v[44:45], v[52:53], v[31:32]
	v_fma_f64 v[31:32], v[46:47], v[54:55], v[31:32]
	ds_read2_b64 v[44:47], v7 offset0:128 offset1:160
	ds_read_b128 v[48:51], v39 offset:8224
	ds_read_b128 v[52:55], v39 offset:8240
	s_waitcnt lgkmcnt(1)
	v_fma_f64 v[31:32], v[44:45], v[48:49], v[31:32]
	v_fma_f64 v[31:32], v[46:47], v[50:51], v[31:32]
	ds_read2_b64 v[44:47], v7 offset0:192 offset1:224
	s_waitcnt lgkmcnt(0)
	v_fma_f64 v[31:32], v[44:45], v[52:53], v[31:32]
	v_fma_f64 v[31:32], v[46:47], v[54:55], v[31:32]
	ds_read2_b64 v[44:47], v41 offset1:32
	ds_read_b128 v[48:51], v39 offset:8256
	ds_read_b128 v[52:55], v39 offset:8272
	s_waitcnt lgkmcnt(1)
	v_fma_f64 v[31:32], v[44:45], v[48:49], v[31:32]
	v_fma_f64 v[31:32], v[46:47], v[50:51], v[31:32]
	ds_read2_b64 v[44:47], v41 offset0:64 offset1:96
	s_waitcnt lgkmcnt(0)
	v_fma_f64 v[31:32], v[44:45], v[52:53], v[31:32]
	v_fma_f64 v[31:32], v[46:47], v[54:55], v[31:32]
	ds_read2_b64 v[44:47], v41 offset0:128 offset1:160
	ds_read_b128 v[48:51], v39 offset:8288
	ds_read_b128 v[52:55], v39 offset:8304
	s_waitcnt lgkmcnt(1)
	v_fma_f64 v[31:32], v[44:45], v[48:49], v[31:32]
	v_fma_f64 v[31:32], v[46:47], v[50:51], v[31:32]
	ds_read2_b64 v[44:47], v41 offset0:192 offset1:224
	s_waitcnt lgkmcnt(0)
	v_fma_f64 v[31:32], v[44:45], v[52:53], v[31:32]
	v_fma_f64 v[31:32], v[46:47], v[54:55], v[31:32]
	;; [unrolled: 20-line block ×4, first 2 shown]
	s_branch .LBB5_16
.LBB5_35:                               ;   in Loop: Header=BB5_12 Depth=1
	v_add_co_u32 v25, vcc_lo, v21, s4
	v_add_co_ci_u32_e64 v26, null, s5, v22, vcc_lo
	s_and_b32 vcc_lo, exec_lo, s33
	s_mov_b32 s2, -1
                                        ; implicit-def: $vgpr23_vgpr24
	s_cbranch_vccnz .LBB5_38
; %bb.36:                               ;   in Loop: Header=BB5_12 Depth=1
	s_andn2_b32 vcc_lo, exec_lo, s2
	s_cbranch_vccz .LBB5_39
.LBB5_37:                               ;   in Loop: Header=BB5_12 Depth=1
	v_cmp_gt_i64_e32 vcc_lo, s[26:27], v[21:22]
	s_and_b32 s34, s38, vcc_lo
	s_and_saveexec_b32 s2, s34
	s_cbranch_execz .LBB5_11
	s_branch .LBB5_40
.LBB5_38:                               ;   in Loop: Header=BB5_12 Depth=1
	v_mad_u64_u32 v[23:24], null, v25, s22, v[9:10]
	v_mul_lo_u32 v27, v25, s23
	v_mul_lo_u32 v28, v26, s22
	v_add3_u32 v24, v28, v24, v27
	s_cbranch_execnz .LBB5_37
.LBB5_39:                               ;   in Loop: Header=BB5_12 Depth=1
	v_add_co_u32 v23, vcc_lo, v25, v11
	v_add_co_ci_u32_e64 v24, null, v26, v12, vcc_lo
	v_cmp_gt_i64_e32 vcc_lo, s[26:27], v[21:22]
	s_and_b32 s34, s38, vcc_lo
	s_and_saveexec_b32 s2, s34
	s_cbranch_execz .LBB5_11
.LBB5_40:                               ;   in Loop: Header=BB5_12 Depth=1
	v_mul_f64 v[21:22], v[3:4], v[31:32]
	v_lshlrev_b64 v[23:24], 3, v[23:24]
	s_and_saveexec_b32 s34, s1
	s_xor_b32 s34, exec_lo, s34
	s_cbranch_execz .LBB5_42
; %bb.41:                               ;   in Loop: Header=BB5_12 Depth=1
	v_add_co_u32 v23, vcc_lo, s20, v23
	v_add_co_ci_u32_e64 v24, null, s21, v24, vcc_lo
	global_load_dwordx2 v[25:26], v[23:24], off
	s_waitcnt vmcnt(0)
	v_fma_f64 v[21:22], v[5:6], v[25:26], v[21:22]
	global_store_dwordx2 v[23:24], v[21:22], off
                                        ; implicit-def: $vgpr23_vgpr24
                                        ; implicit-def: $vgpr21_vgpr22
.LBB5_42:                               ;   in Loop: Header=BB5_12 Depth=1
	s_andn2_saveexec_b32 s34, s34
	s_cbranch_execz .LBB5_11
; %bb.43:                               ;   in Loop: Header=BB5_12 Depth=1
	v_add_co_u32 v23, vcc_lo, s20, v23
	v_add_co_ci_u32_e64 v24, null, s21, v24, vcc_lo
	global_store_dwordx2 v[23:24], v[21:22], off
	s_branch .LBB5_11
.LBB5_44:
	s_endpgm
.LBB5_45:
                                        ; implicit-def: $sgpr28_sgpr29
	s_branch .LBB5_8
	.section	.rodata,"a",@progbits
	.p2align	6, 0x0
	.amdhsa_kernel _ZN9rocsparseL30bellmm_general_blockdim_kernelILi32ELi32EdldddEEv20rocsparse_operation_S1_20rocsparse_direction_T2_S3_NS_24const_host_device_scalarIT1_EES3_S3_PKS3_PKT3_PKT4_l16rocsparse_order_S6_PT5_lSF_21rocsparse_index_base_b
		.amdhsa_group_segment_fixed_size 16384
		.amdhsa_private_segment_fixed_size 0
		.amdhsa_kernarg_size 132
		.amdhsa_user_sgpr_count 6
		.amdhsa_user_sgpr_private_segment_buffer 1
		.amdhsa_user_sgpr_dispatch_ptr 0
		.amdhsa_user_sgpr_queue_ptr 0
		.amdhsa_user_sgpr_kernarg_segment_ptr 1
		.amdhsa_user_sgpr_dispatch_id 0
		.amdhsa_user_sgpr_flat_scratch_init 0
		.amdhsa_user_sgpr_private_segment_size 0
		.amdhsa_wavefront_size32 1
		.amdhsa_uses_dynamic_stack 0
		.amdhsa_system_sgpr_private_segment_wavefront_offset 0
		.amdhsa_system_sgpr_workgroup_id_x 1
		.amdhsa_system_sgpr_workgroup_id_y 1
		.amdhsa_system_sgpr_workgroup_id_z 0
		.amdhsa_system_sgpr_workgroup_info 0
		.amdhsa_system_vgpr_workitem_id 1
		.amdhsa_next_free_vgpr 56
		.amdhsa_next_free_sgpr 44
		.amdhsa_reserve_vcc 1
		.amdhsa_reserve_flat_scratch 0
		.amdhsa_float_round_mode_32 0
		.amdhsa_float_round_mode_16_64 0
		.amdhsa_float_denorm_mode_32 3
		.amdhsa_float_denorm_mode_16_64 3
		.amdhsa_dx10_clamp 1
		.amdhsa_ieee_mode 1
		.amdhsa_fp16_overflow 0
		.amdhsa_workgroup_processor_mode 1
		.amdhsa_memory_ordered 1
		.amdhsa_forward_progress 1
		.amdhsa_shared_vgpr_count 0
		.amdhsa_exception_fp_ieee_invalid_op 0
		.amdhsa_exception_fp_denorm_src 0
		.amdhsa_exception_fp_ieee_div_zero 0
		.amdhsa_exception_fp_ieee_overflow 0
		.amdhsa_exception_fp_ieee_underflow 0
		.amdhsa_exception_fp_ieee_inexact 0
		.amdhsa_exception_int_div_zero 0
	.end_amdhsa_kernel
	.section	.text._ZN9rocsparseL30bellmm_general_blockdim_kernelILi32ELi32EdldddEEv20rocsparse_operation_S1_20rocsparse_direction_T2_S3_NS_24const_host_device_scalarIT1_EES3_S3_PKS3_PKT3_PKT4_l16rocsparse_order_S6_PT5_lSF_21rocsparse_index_base_b,"axG",@progbits,_ZN9rocsparseL30bellmm_general_blockdim_kernelILi32ELi32EdldddEEv20rocsparse_operation_S1_20rocsparse_direction_T2_S3_NS_24const_host_device_scalarIT1_EES3_S3_PKS3_PKT3_PKT4_l16rocsparse_order_S6_PT5_lSF_21rocsparse_index_base_b,comdat
.Lfunc_end5:
	.size	_ZN9rocsparseL30bellmm_general_blockdim_kernelILi32ELi32EdldddEEv20rocsparse_operation_S1_20rocsparse_direction_T2_S3_NS_24const_host_device_scalarIT1_EES3_S3_PKS3_PKT3_PKT4_l16rocsparse_order_S6_PT5_lSF_21rocsparse_index_base_b, .Lfunc_end5-_ZN9rocsparseL30bellmm_general_blockdim_kernelILi32ELi32EdldddEEv20rocsparse_operation_S1_20rocsparse_direction_T2_S3_NS_24const_host_device_scalarIT1_EES3_S3_PKS3_PKT3_PKT4_l16rocsparse_order_S6_PT5_lSF_21rocsparse_index_base_b
                                        ; -- End function
	.set _ZN9rocsparseL30bellmm_general_blockdim_kernelILi32ELi32EdldddEEv20rocsparse_operation_S1_20rocsparse_direction_T2_S3_NS_24const_host_device_scalarIT1_EES3_S3_PKS3_PKT3_PKT4_l16rocsparse_order_S6_PT5_lSF_21rocsparse_index_base_b.num_vgpr, 56
	.set _ZN9rocsparseL30bellmm_general_blockdim_kernelILi32ELi32EdldddEEv20rocsparse_operation_S1_20rocsparse_direction_T2_S3_NS_24const_host_device_scalarIT1_EES3_S3_PKS3_PKT3_PKT4_l16rocsparse_order_S6_PT5_lSF_21rocsparse_index_base_b.num_agpr, 0
	.set _ZN9rocsparseL30bellmm_general_blockdim_kernelILi32ELi32EdldddEEv20rocsparse_operation_S1_20rocsparse_direction_T2_S3_NS_24const_host_device_scalarIT1_EES3_S3_PKS3_PKT3_PKT4_l16rocsparse_order_S6_PT5_lSF_21rocsparse_index_base_b.numbered_sgpr, 44
	.set _ZN9rocsparseL30bellmm_general_blockdim_kernelILi32ELi32EdldddEEv20rocsparse_operation_S1_20rocsparse_direction_T2_S3_NS_24const_host_device_scalarIT1_EES3_S3_PKS3_PKT3_PKT4_l16rocsparse_order_S6_PT5_lSF_21rocsparse_index_base_b.num_named_barrier, 0
	.set _ZN9rocsparseL30bellmm_general_blockdim_kernelILi32ELi32EdldddEEv20rocsparse_operation_S1_20rocsparse_direction_T2_S3_NS_24const_host_device_scalarIT1_EES3_S3_PKS3_PKT3_PKT4_l16rocsparse_order_S6_PT5_lSF_21rocsparse_index_base_b.private_seg_size, 0
	.set _ZN9rocsparseL30bellmm_general_blockdim_kernelILi32ELi32EdldddEEv20rocsparse_operation_S1_20rocsparse_direction_T2_S3_NS_24const_host_device_scalarIT1_EES3_S3_PKS3_PKT3_PKT4_l16rocsparse_order_S6_PT5_lSF_21rocsparse_index_base_b.uses_vcc, 1
	.set _ZN9rocsparseL30bellmm_general_blockdim_kernelILi32ELi32EdldddEEv20rocsparse_operation_S1_20rocsparse_direction_T2_S3_NS_24const_host_device_scalarIT1_EES3_S3_PKS3_PKT3_PKT4_l16rocsparse_order_S6_PT5_lSF_21rocsparse_index_base_b.uses_flat_scratch, 0
	.set _ZN9rocsparseL30bellmm_general_blockdim_kernelILi32ELi32EdldddEEv20rocsparse_operation_S1_20rocsparse_direction_T2_S3_NS_24const_host_device_scalarIT1_EES3_S3_PKS3_PKT3_PKT4_l16rocsparse_order_S6_PT5_lSF_21rocsparse_index_base_b.has_dyn_sized_stack, 0
	.set _ZN9rocsparseL30bellmm_general_blockdim_kernelILi32ELi32EdldddEEv20rocsparse_operation_S1_20rocsparse_direction_T2_S3_NS_24const_host_device_scalarIT1_EES3_S3_PKS3_PKT3_PKT4_l16rocsparse_order_S6_PT5_lSF_21rocsparse_index_base_b.has_recursion, 0
	.set _ZN9rocsparseL30bellmm_general_blockdim_kernelILi32ELi32EdldddEEv20rocsparse_operation_S1_20rocsparse_direction_T2_S3_NS_24const_host_device_scalarIT1_EES3_S3_PKS3_PKT3_PKT4_l16rocsparse_order_S6_PT5_lSF_21rocsparse_index_base_b.has_indirect_call, 0
	.section	.AMDGPU.csdata,"",@progbits
; Kernel info:
; codeLenInByte = 2936
; TotalNumSgprs: 46
; NumVgprs: 56
; ScratchSize: 0
; MemoryBound: 0
; FloatMode: 240
; IeeeMode: 1
; LDSByteSize: 16384 bytes/workgroup (compile time only)
; SGPRBlocks: 0
; VGPRBlocks: 6
; NumSGPRsForWavesPerEU: 46
; NumVGPRsForWavesPerEU: 56
; Occupancy: 16
; WaveLimiterHint : 1
; COMPUTE_PGM_RSRC2:SCRATCH_EN: 0
; COMPUTE_PGM_RSRC2:USER_SGPR: 6
; COMPUTE_PGM_RSRC2:TRAP_HANDLER: 0
; COMPUTE_PGM_RSRC2:TGID_X_EN: 1
; COMPUTE_PGM_RSRC2:TGID_Y_EN: 1
; COMPUTE_PGM_RSRC2:TGID_Z_EN: 0
; COMPUTE_PGM_RSRC2:TIDIG_COMP_CNT: 1
	.section	.text._ZN9rocsparseL30bellmm_general_blockdim_kernelILi32ELi32E21rocsparse_complex_numIfEiS2_S2_S2_EEv20rocsparse_operation_S3_20rocsparse_direction_T2_S5_NS_24const_host_device_scalarIT1_EES5_S5_PKS5_PKT3_PKT4_l16rocsparse_order_S8_PT5_lSH_21rocsparse_index_base_b,"axG",@progbits,_ZN9rocsparseL30bellmm_general_blockdim_kernelILi32ELi32E21rocsparse_complex_numIfEiS2_S2_S2_EEv20rocsparse_operation_S3_20rocsparse_direction_T2_S5_NS_24const_host_device_scalarIT1_EES5_S5_PKS5_PKT3_PKT4_l16rocsparse_order_S8_PT5_lSH_21rocsparse_index_base_b,comdat
	.globl	_ZN9rocsparseL30bellmm_general_blockdim_kernelILi32ELi32E21rocsparse_complex_numIfEiS2_S2_S2_EEv20rocsparse_operation_S3_20rocsparse_direction_T2_S5_NS_24const_host_device_scalarIT1_EES5_S5_PKS5_PKT3_PKT4_l16rocsparse_order_S8_PT5_lSH_21rocsparse_index_base_b ; -- Begin function _ZN9rocsparseL30bellmm_general_blockdim_kernelILi32ELi32E21rocsparse_complex_numIfEiS2_S2_S2_EEv20rocsparse_operation_S3_20rocsparse_direction_T2_S5_NS_24const_host_device_scalarIT1_EES5_S5_PKS5_PKT3_PKT4_l16rocsparse_order_S8_PT5_lSH_21rocsparse_index_base_b
	.p2align	8
	.type	_ZN9rocsparseL30bellmm_general_blockdim_kernelILi32ELi32E21rocsparse_complex_numIfEiS2_S2_S2_EEv20rocsparse_operation_S3_20rocsparse_direction_T2_S5_NS_24const_host_device_scalarIT1_EES5_S5_PKS5_PKT3_PKT4_l16rocsparse_order_S8_PT5_lSH_21rocsparse_index_base_b,@function
_ZN9rocsparseL30bellmm_general_blockdim_kernelILi32ELi32E21rocsparse_complex_numIfEiS2_S2_S2_EEv20rocsparse_operation_S3_20rocsparse_direction_T2_S5_NS_24const_host_device_scalarIT1_EES5_S5_PKS5_PKT3_PKT4_l16rocsparse_order_S8_PT5_lSH_21rocsparse_index_base_b: ; @_ZN9rocsparseL30bellmm_general_blockdim_kernelILi32ELi32E21rocsparse_complex_numIfEiS2_S2_S2_EEv20rocsparse_operation_S3_20rocsparse_direction_T2_S5_NS_24const_host_device_scalarIT1_EES5_S5_PKS5_PKT3_PKT4_l16rocsparse_order_S8_PT5_lSH_21rocsparse_index_base_b
; %bb.0:
	s_clause 0x2
	s_load_dwordx4 s[16:19], s[4:5], 0x68
	s_load_dwordx2 s[0:1], s[4:5], 0x18
	s_load_dwordx2 s[2:3], s[4:5], 0x50
	s_add_u32 s8, s4, 24
	s_addc_u32 s9, s5, 0
	s_add_u32 s10, s4, 0x50
	s_addc_u32 s11, s5, 0
	s_waitcnt lgkmcnt(0)
	s_bitcmp1_b32 s18, 0
	s_cselect_b32 s0, s8, s0
	s_cselect_b32 s1, s9, s1
	v_mov_b32_e32 v2, s0
	v_mov_b32_e32 v3, s1
	s_cselect_b32 s0, s10, s2
	s_cselect_b32 s1, s11, s3
	flat_load_dwordx2 v[14:15], v[2:3]
	v_mov_b32_e32 v2, s0
	v_mov_b32_e32 v3, s1
	flat_load_dwordx2 v[16:17], v[2:3]
	s_waitcnt vmcnt(1) lgkmcnt(1)
	v_cmp_eq_f32_e32 vcc_lo, 0, v14
	v_cmp_eq_f32_e64 s0, 0, v15
	s_and_b32 s2, vcc_lo, s0
	s_mov_b32 s0, -1
	s_and_saveexec_b32 s1, s2
	s_cbranch_execz .LBB6_2
; %bb.1:
	s_waitcnt vmcnt(0) lgkmcnt(0)
	v_cmp_neq_f32_e32 vcc_lo, 1.0, v16
	v_cmp_neq_f32_e64 s0, 0, v17
	s_or_b32 s0, vcc_lo, s0
	s_orn2_b32 s0, s0, exec_lo
.LBB6_2:
	s_or_b32 exec_lo, exec_lo, s1
	s_and_saveexec_b32 s1, s0
	s_cbranch_execz .LBB6_56
; %bb.3:
	s_clause 0x1
	s_load_dwordx4 s[0:3], s[4:5], 0x0
	s_load_dwordx2 s[18:19], s[4:5], 0x20
	s_mov_b32 s24, 0
	s_waitcnt lgkmcnt(0)
	s_cmp_lt_i32 s6, s3
	s_cselect_b32 s25, -1, 0
	s_cmp_ge_i32 s6, s3
	s_cbranch_scc1 .LBB6_5
; %bb.4:
	s_abs_i32 s8, s19
	s_abs_i32 s11, s18
	v_cvt_f32_u32_e32 v2, s8
	s_sub_i32 s10, 0, s8
	v_rcp_iflag_f32_e32 v2, v2
	v_mul_f32_e32 v2, 0x4f7ffffe, v2
	v_cvt_u32_f32_e32 v2, v2
	v_readfirstlane_b32 s9, v2
	s_mul_i32 s10, s10, s9
	s_mul_hi_u32 s10, s9, s10
	s_add_i32 s9, s9, s10
	s_xor_b32 s10, s18, s19
	s_mul_hi_u32 s9, s11, s9
	s_ashr_i32 s10, s10, 31
	s_mul_i32 s12, s9, s8
	s_sub_i32 s11, s11, s12
	s_add_i32 s12, s9, 1
	s_sub_i32 s13, s11, s8
	s_cmp_ge_u32 s11, s8
	s_cselect_b32 s9, s12, s9
	s_cselect_b32 s11, s13, s11
	s_add_i32 s12, s9, 1
	s_cmp_ge_u32 s11, s8
	s_cselect_b32 s8, s12, s9
	s_xor_b32 s8, s8, s10
	s_sub_i32 s24, s8, s10
.LBB6_5:
	s_cmp_lt_i32 s19, 1
	s_cbranch_scc1 .LBB6_56
; %bb.6:
	s_clause 0x3
	s_load_dwordx8 s[8:15], s[4:5], 0x28
	s_load_dword s18, s[4:5], 0x48
	s_load_dwordx4 s[20:23], s[4:5], 0x58
	s_load_dword s26, s[4:5], 0x10
	v_lshl_add_u32 v18, s7, 5, v1
	s_cmp_gt_i32 s24, 0
	s_mul_i32 s4, s19, s6
	s_cselect_b32 s7, -1, 0
	s_cmpk_eq_i32 s1, 0x6f
	v_ashrrev_i32_e32 v19, 31, v18
	s_cselect_b32 s27, -1, 0
	v_lshlrev_b32_e32 v28, 3, v0
	v_lshlrev_b32_e32 v6, 8, v1
	v_mov_b32_e32 v23, 0
	v_lshlrev_b64 v[4:5], 3, v[18:19]
	s_mov_b32 s5, 0
	v_or_b32_e32 v9, 0x2000, v28
	v_add_nc_u32_e32 v33, 0x2000, v6
	v_add_nc_u32_e32 v36, v28, v6
	;; [unrolled: 1-line block ×3, first 2 shown]
	s_waitcnt lgkmcnt(0)
	v_mul_lo_u32 v7, s14, v19
	v_mul_lo_u32 v8, s15, v18
	v_mad_u64_u32 v[2:3], null, s14, v18, 0
	s_cmp_lg_u32 s18, 1
	v_add_co_u32 v29, vcc_lo, s12, v4
	s_cselect_b32 s28, -1, 0
	s_cmp_lg_u32 s2, 0
	v_add_co_ci_u32_e64 v30, null, s13, v5, vcc_lo
	v_add3_u32 v3, v3, v7, v8
	s_cselect_b32 s2, -1, 0
	s_cmpk_eq_i32 s1, 0x71
	v_mad_u64_u32 v[20:21], null, s22, v18, 0
	v_lshlrev_b64 v[2:3], 3, v[2:3]
	s_cselect_b32 s18, -1, 0
	s_cmpk_lg_i32 s1, 0x71
	v_add_nc_u32_e32 v4, s4, v1
	s_cselect_b32 s1, -1, 0
	s_cmpk_lg_i32 s0, 0x71
	v_add_co_u32 v31, vcc_lo, s12, v2
	v_add_co_ci_u32_e64 v32, null, s13, v3, vcc_lo
	v_mul_lo_u32 v2, s22, v19
	v_mul_lo_u32 v3, s23, v18
	v_cmp_gt_i32_e64 s0, s26, v18
	s_cselect_b32 s26, -1, 0
	s_waitcnt vmcnt(0)
	v_cmp_neq_f32_e32 vcc_lo, 0, v16
	s_and_b32 s13, s26, s18
	s_or_b32 s12, s26, s1
	v_cmp_neq_f32_e64 s1, 0, v17
	v_mul_lo_u32 v34, s19, v4
	s_xor_b32 s13, s13, -1
	s_or_b32 s18, s26, s18
	s_cmp_lg_u32 s16, 1
	v_add3_u32 v21, v21, v2, v3
	v_add_nc_u32_e32 v35, v9, v6
	v_add_nc_u32_e32 v38, 0x800, v28
	;; [unrolled: 1-line block ×6, first 2 shown]
	s_cselect_b32 s16, -1, 0
	s_or_b32 s26, vcc_lo, s1
	s_xor_b32 s1, s27, s28
	s_mul_i32 s28, s19, s19
	s_and_b32 s25, s25, s0
	s_xor_b32 s27, s1, -1
	s_mul_i32 s28, s28, s3
	s_lshl_b32 s29, s19, 5
	s_branch .LBB6_8
.LBB6_7:                                ;   in Loop: Header=BB6_8 Depth=1
	s_or_b32 exec_lo, exec_lo, s1
	v_add_nc_u32_e32 v34, 32, v34
	s_add_i32 s5, s5, 32
	s_cmp_lt_i32 s5, s19
	s_cbranch_scc0 .LBB6_56
.LBB6_8:                                ; =>This Loop Header: Depth=1
                                        ;     Child Loop BB6_11 Depth 2
                                        ;       Child Loop BB6_14 Depth 3
	v_add_nc_u32_e32 v24, s5, v0
	v_mov_b32_e32 v46, v23
	v_mov_b32_e32 v47, v23
	s_andn2_b32 vcc_lo, exec_lo, s7
	v_cmp_gt_i32_e64 s1, s19, v24
	s_cbranch_vccnz .LBB6_47
; %bb.9:                                ;   in Loop: Header=BB6_8 Depth=1
	v_mov_b32_e32 v46, 0
	v_mov_b32_e32 v43, v34
	;; [unrolled: 1-line block ×3, first 2 shown]
	s_mov_b32 s30, 0
	s_branch .LBB6_11
.LBB6_10:                               ;   in Loop: Header=BB6_11 Depth=2
	v_add_nc_u32_e32 v43, s28, v43
	s_add_i32 s30, s30, 1
	s_cmp_eq_u32 s30, s24
	s_cbranch_scc1 .LBB6_47
.LBB6_11:                               ;   Parent Loop BB6_8 Depth=1
                                        ; =>  This Loop Header: Depth=2
                                        ;       Child Loop BB6_14 Depth 3
	s_mul_i32 s31, s30, s3
	v_add_nc_u32_e32 v45, v0, v43
	s_add_i32 s34, s31, s6
	s_mov_b32 s33, 0
	s_ashr_i32 s35, s34, 31
	v_mad_u64_u32 v[2:3], null, s34, s19, v[24:25]
	s_lshl_b64 s[36:37], s[34:35], 2
	s_mov_b32 s34, 0
	s_add_u32 s36, s8, s36
	s_addc_u32 s37, s9, s37
	s_load_dword s31, s[36:37], 0x0
	v_mul_lo_u32 v44, v2, s19
	s_waitcnt lgkmcnt(0)
	s_sub_i32 s31, s31, s17
	v_mad_u64_u32 v[25:26], null, s31, s19, v[0:1]
	s_cmp_gt_i32 s31, -1
	s_cselect_b32 s31, -1, 0
	s_branch .LBB6_14
.LBB6_12:                               ;   in Loop: Header=BB6_14 Depth=3
	v_mov_b32_e32 v47, v22
	v_mov_b32_e32 v46, v10
.LBB6_13:                               ;   in Loop: Header=BB6_14 Depth=3
	s_add_i32 s34, s34, 32
	s_add_i32 s33, s33, s29
	s_cmp_ge_i32 s34, s19
	s_waitcnt lgkmcnt(0)
	s_barrier
	buffer_gl0_inv
	s_cbranch_scc1 .LBB6_10
.LBB6_14:                               ;   Parent Loop BB6_8 Depth=1
                                        ;     Parent Loop BB6_11 Depth=2
                                        ; =>    This Inner Loop Header: Depth=3
	v_add_nc_u32_e32 v2, s34, v0
	v_cmp_gt_i32_e32 vcc_lo, s19, v2
	s_and_b32 s35, s0, vcc_lo
	s_and_b32 vcc_lo, exec_lo, s27
	s_and_b32 s36, s35, s31
	s_cbranch_vccz .LBB6_18
; %bb.15:                               ;   in Loop: Header=BB6_14 Depth=3
	s_mov_b32 s37, 0
	s_mov_b32 s35, 0
                                        ; implicit-def: $vgpr2_vgpr3
	s_and_saveexec_b32 s38, s36
	s_xor_b32 s38, exec_lo, s38
	s_cbranch_execz .LBB6_17
; %bb.16:                               ;   in Loop: Header=BB6_14 Depth=3
	v_add_nc_u32_e32 v4, s34, v25
	s_mov_b32 s35, exec_lo
	v_mad_u64_u32 v[2:3], null, s14, v4, 0
	v_mad_u64_u32 v[3:4], null, s15, v4, v[3:4]
	v_lshlrev_b64 v[2:3], 3, v[2:3]
	v_add_co_u32 v2, vcc_lo, v29, v2
	v_add_co_ci_u32_e64 v3, null, v30, v3, vcc_lo
.LBB6_17:                               ;   in Loop: Header=BB6_14 Depth=3
	s_or_b32 exec_lo, exec_lo, s38
	s_and_b32 vcc_lo, exec_lo, s37
	s_cbranch_vccnz .LBB6_19
	s_branch .LBB6_22
.LBB6_18:                               ;   in Loop: Header=BB6_14 Depth=3
	s_mov_b32 s35, 0
                                        ; implicit-def: $vgpr2_vgpr3
	s_cbranch_execz .LBB6_22
.LBB6_19:                               ;   in Loop: Header=BB6_14 Depth=3
                                        ; implicit-def: $vgpr2_vgpr3
	s_and_saveexec_b32 s37, s36
; %bb.20:                               ;   in Loop: Header=BB6_14 Depth=3
	v_add_nc_u32_e32 v22, s34, v25
	s_or_b32 s35, s35, exec_lo
	v_lshlrev_b64 v[2:3], 3, v[22:23]
	v_add_co_u32 v2, vcc_lo, v31, v2
	v_add_co_ci_u32_e64 v3, null, v32, v3, vcc_lo
; %bb.21:                               ;   in Loop: Header=BB6_14 Depth=3
	s_or_b32 exec_lo, exec_lo, s37
.LBB6_22:                               ;   in Loop: Header=BB6_14 Depth=3
	v_mov_b32_e32 v4, 0
	v_mov_b32_e32 v5, 0
	s_and_saveexec_b32 s36, s35
	s_cbranch_execz .LBB6_24
; %bb.23:                               ;   in Loop: Header=BB6_14 Depth=3
	global_load_dwordx2 v[4:5], v[2:3], off
.LBB6_24:                               ;   in Loop: Header=BB6_14 Depth=3
	s_or_b32 exec_lo, exec_lo, s36
	v_add_nc_u32_e32 v3, s34, v1
	s_waitcnt vmcnt(0)
	ds_write_b64 v35, v[4:5]
	v_cmp_gt_i32_e32 vcc_lo, s19, v3
	s_and_b32 s35, s1, vcc_lo
	s_and_b32 vcc_lo, exec_lo, s2
	s_and_b32 s36, s35, s31
	s_cbranch_vccz .LBB6_43
; %bb.25:                               ;   in Loop: Header=BB6_14 Depth=3
	s_mov_b32 s37, 0
	s_mov_b32 s35, 0
                                        ; implicit-def: $vgpr2
	s_and_saveexec_b32 s38, s36
	s_xor_b32 s38, exec_lo, s38
; %bb.26:                               ;   in Loop: Header=BB6_14 Depth=3
	s_mov_b32 s35, exec_lo
	v_add_nc_u32_e32 v2, s33, v45
; %bb.27:                               ;   in Loop: Header=BB6_14 Depth=3
	s_or_b32 exec_lo, exec_lo, s38
	s_and_b32 vcc_lo, exec_lo, s37
	s_cbranch_vccnz .LBB6_44
.LBB6_28:                               ;   in Loop: Header=BB6_14 Depth=3
	v_mov_b32_e32 v3, 0
	v_mov_b32_e32 v4, 0
	s_and_saveexec_b32 s36, s35
	s_cbranch_execz .LBB6_30
.LBB6_29:                               ;   in Loop: Header=BB6_14 Depth=3
	v_ashrrev_i32_e32 v3, 31, v2
	v_lshlrev_b64 v[2:3], 3, v[2:3]
	v_add_co_u32 v2, vcc_lo, s10, v2
	v_add_co_ci_u32_e64 v3, null, s11, v3, vcc_lo
	global_load_dwordx2 v[3:4], v[2:3], off
.LBB6_30:                               ;   in Loop: Header=BB6_14 Depth=3
	s_or_b32 exec_lo, exec_lo, s36
	s_andn2_b32 vcc_lo, exec_lo, s31
	s_waitcnt vmcnt(0)
	ds_write_b64 v36, v[3:4]
	s_waitcnt lgkmcnt(0)
	s_barrier
	buffer_gl0_inv
	s_cbranch_vccnz .LBB6_13
; %bb.31:                               ;   in Loop: Header=BB6_14 Depth=3
	s_and_b32 vcc_lo, exec_lo, s12
	s_mov_b32 s35, -1
                                        ; implicit-def: $vgpr10
                                        ; implicit-def: $vgpr22
	s_cbranch_vccz .LBB6_41
; %bb.32:                               ;   in Loop: Header=BB6_14 Depth=3
	s_and_b32 vcc_lo, exec_lo, s13
                                        ; implicit-def: $vgpr10
                                        ; implicit-def: $vgpr22
	s_cbranch_vccz .LBB6_38
; %bb.33:                               ;   in Loop: Header=BB6_14 Depth=3
	ds_read2_b64 v[2:5], v28 offset1:32
	ds_read_b64 v[26:27], v28 offset:512
	s_andn2_b32 vcc_lo, exec_lo, s18
                                        ; implicit-def: $vgpr10
                                        ; implicit-def: $vgpr22
	s_cbranch_vccnz .LBB6_35
; %bb.34:                               ;   in Loop: Header=BB6_14 Depth=3
	ds_read_b128 v[10:13], v33
	ds_read_b128 v[6:9], v33 offset:16
	ds_read_b64 v[60:61], v28 offset:7936
	ds_read2_b64 v[48:51], v28 offset0:96 offset1:128
	ds_read_b128 v[52:55], v33 offset:32
	ds_read2_b64 v[56:59], v28 offset0:160 offset1:192
	s_mov_b32 s35, 0
	s_waitcnt lgkmcnt(5)
	v_fma_f32 v22, v2, v10, v47
	v_fma_f32 v10, v3, v10, v46
	v_fma_f32 v22, -v3, v11, v22
	v_fmac_f32_e32 v10, v2, v11
	v_fmac_f32_e32 v22, v4, v12
	;; [unrolled: 1-line block ×3, first 2 shown]
	v_fma_f32 v11, -v5, v13, v22
	v_fmac_f32_e32 v10, v4, v13
	s_waitcnt lgkmcnt(4)
	v_fmac_f32_e32 v11, v26, v6
	v_fmac_f32_e32 v10, v27, v6
	v_fma_f32 v6, -v27, v7, v11
	v_fmac_f32_e32 v10, v26, v7
	s_waitcnt lgkmcnt(2)
	v_fmac_f32_e32 v6, v48, v8
	v_fmac_f32_e32 v10, v49, v8
	v_fma_f32 v11, -v49, v9, v6
	v_fmac_f32_e32 v10, v48, v9
	ds_read_b128 v[6:9], v33 offset:48
	s_waitcnt lgkmcnt(2)
	v_fmac_f32_e32 v11, v50, v52
	v_fmac_f32_e32 v10, v51, v52
	v_fma_f32 v11, -v51, v53, v11
	v_fmac_f32_e32 v10, v50, v53
	ds_read2_b64 v[48:51], v37 offset0:96 offset1:128
	s_waitcnt lgkmcnt(2)
	v_fmac_f32_e32 v11, v56, v54
	v_fmac_f32_e32 v10, v57, v54
	v_fma_f32 v11, -v57, v55, v11
	v_fmac_f32_e32 v10, v56, v55
	ds_read_b128 v[52:55], v33 offset:64
	s_waitcnt lgkmcnt(2)
	v_fmac_f32_e32 v11, v58, v6
	v_fmac_f32_e32 v10, v59, v6
	v_fma_f32 v6, -v59, v7, v11
	v_fmac_f32_e32 v10, v58, v7
	ds_read2_b64 v[56:59], v38 offset0:32 offset1:64
	;; [unrolled: 12-line block ×12, first 2 shown]
	s_waitcnt lgkmcnt(2)
	v_fmac_f32_e32 v6, v48, v8
	v_fmac_f32_e32 v10, v49, v8
	v_fma_f32 v11, -v49, v9, v6
	v_fmac_f32_e32 v10, v48, v9
	ds_read_b128 v[6:9], v33 offset:240
	s_waitcnt lgkmcnt(2)
	v_fmac_f32_e32 v11, v50, v52
	v_fmac_f32_e32 v10, v51, v52
	v_fma_f32 v11, -v51, v53, v11
	v_fmac_f32_e32 v10, v50, v53
	s_waitcnt lgkmcnt(1)
	v_fmac_f32_e32 v11, v56, v54
	v_fmac_f32_e32 v10, v57, v54
	v_fma_f32 v11, -v57, v55, v11
	v_fmac_f32_e32 v10, v56, v55
	;; [unrolled: 5-line block ×3, first 2 shown]
	v_fmac_f32_e32 v6, v60, v8
	v_fmac_f32_e32 v10, v61, v8
	v_fma_f32 v22, -v61, v9, v6
	v_fmac_f32_e32 v10, v60, v9
.LBB6_35:                               ;   in Loop: Header=BB6_14 Depth=3
	s_andn2_b32 vcc_lo, exec_lo, s35
	s_cbranch_vccnz .LBB6_37
; %bb.36:                               ;   in Loop: Header=BB6_14 Depth=3
	ds_read_b128 v[10:13], v33
	ds_read_b128 v[6:9], v33 offset:16
	ds_read_b64 v[52:53], v28 offset:7936
	ds_read2_b64 v[48:51], v28 offset0:96 offset1:128
	s_waitcnt lgkmcnt(3)
	v_fma_f32 v22, v2, v10, v47
	v_fma_f32 v10, -v3, v10, v46
	v_fmac_f32_e32 v22, v3, v11
	v_fmac_f32_e32 v10, v2, v11
	;; [unrolled: 1-line block ×3, first 2 shown]
	v_fma_f32 v10, -v5, v12, v10
	v_fmac_f32_e32 v22, v5, v13
	v_fmac_f32_e32 v10, v4, v13
	ds_read_b128 v[2:5], v33 offset:32
	s_waitcnt lgkmcnt(3)
	v_fmac_f32_e32 v22, v26, v6
	v_fma_f32 v6, -v27, v6, v10
	ds_read2_b64 v[10:13], v28 offset0:160 offset1:192
	v_fmac_f32_e32 v22, v27, v7
	v_fmac_f32_e32 v6, v26, v7
	s_waitcnt lgkmcnt(2)
	v_fmac_f32_e32 v22, v48, v8
	v_fma_f32 v26, -v49, v8, v6
	v_fmac_f32_e32 v22, v49, v9
	v_fmac_f32_e32 v26, v48, v9
	ds_read_b128 v[6:9], v33 offset:48
	s_waitcnt lgkmcnt(2)
	v_fmac_f32_e32 v22, v50, v2
	v_fma_f32 v2, -v51, v2, v26
	v_fmac_f32_e32 v22, v51, v3
	v_fmac_f32_e32 v2, v50, v3
	ds_read2_b64 v[48:51], v37 offset0:96 offset1:128
	s_waitcnt lgkmcnt(2)
	v_fmac_f32_e32 v22, v10, v4
	v_fma_f32 v26, -v11, v4, v2
	v_fmac_f32_e32 v22, v11, v5
	v_fmac_f32_e32 v26, v10, v5
	ds_read_b128 v[2:5], v33 offset:64
	s_waitcnt lgkmcnt(2)
	v_fmac_f32_e32 v22, v12, v6
	v_fma_f32 v6, -v13, v6, v26
	v_fmac_f32_e32 v22, v13, v7
	v_fmac_f32_e32 v6, v12, v7
	ds_read2_b64 v[10:13], v38 offset0:32 offset1:64
	;; [unrolled: 12-line block ×12, first 2 shown]
	s_waitcnt lgkmcnt(2)
	v_fmac_f32_e32 v22, v48, v8
	v_fma_f32 v26, -v49, v8, v6
	v_fmac_f32_e32 v22, v49, v9
	v_fmac_f32_e32 v26, v48, v9
	ds_read_b128 v[6:9], v33 offset:240
	s_waitcnt lgkmcnt(2)
	v_fmac_f32_e32 v22, v50, v2
	v_fma_f32 v2, -v51, v2, v26
	v_fmac_f32_e32 v22, v51, v3
	v_fmac_f32_e32 v2, v50, v3
	s_waitcnt lgkmcnt(1)
	v_fmac_f32_e32 v22, v10, v4
	v_fma_f32 v2, -v11, v4, v2
	v_fmac_f32_e32 v22, v11, v5
	v_fmac_f32_e32 v2, v10, v5
	;; [unrolled: 5-line block ×3, first 2 shown]
	v_fmac_f32_e32 v22, v52, v8
	v_fma_f32 v10, -v53, v8, v2
	v_fmac_f32_e32 v22, v53, v9
	v_fmac_f32_e32 v10, v52, v9
.LBB6_37:                               ;   in Loop: Header=BB6_14 Depth=3
	s_mov_b32 s35, 0
.LBB6_38:                               ;   in Loop: Header=BB6_14 Depth=3
	s_andn2_b32 vcc_lo, exec_lo, s35
	s_cbranch_vccnz .LBB6_40
; %bb.39:                               ;   in Loop: Header=BB6_14 Depth=3
	s_waitcnt lgkmcnt(1)
	ds_read2_b64 v[2:5], v28 offset1:32
	ds_read_b128 v[6:9], v33
	ds_read_b128 v[10:13], v33 offset:16
	ds_read2_b64 v[48:51], v28 offset0:64 offset1:96
	s_waitcnt lgkmcnt(2)
	v_fma_f32 v22, v2, v6, v47
	v_fma_f32 v6, v3, v6, v46
	v_fmac_f32_e32 v22, v3, v7
	v_fma_f32 v2, v2, -v7, v6
	v_fmac_f32_e32 v22, v4, v8
	v_fmac_f32_e32 v2, v5, v8
	;; [unrolled: 1-line block ×3, first 2 shown]
	v_fma_f32 v26, v4, -v9, v2
	ds_read_b128 v[2:5], v33 offset:32
	ds_read2_b64 v[6:9], v28 offset0:128 offset1:160
	s_waitcnt lgkmcnt(2)
	v_fmac_f32_e32 v22, v48, v10
	v_fmac_f32_e32 v26, v49, v10
	;; [unrolled: 1-line block ×3, first 2 shown]
	v_fma_f32 v10, v48, -v11, v26
	v_fmac_f32_e32 v22, v50, v12
	v_fmac_f32_e32 v10, v51, v12
	;; [unrolled: 1-line block ×3, first 2 shown]
	v_fma_f32 v26, v50, -v13, v10
	ds_read_b128 v[10:13], v33 offset:48
	ds_read2_b64 v[48:51], v28 offset0:192 offset1:224
	s_waitcnt lgkmcnt(2)
	v_fmac_f32_e32 v22, v6, v2
	v_fmac_f32_e32 v26, v7, v2
	v_fmac_f32_e32 v22, v7, v3
	v_fma_f32 v2, v6, -v3, v26
	v_fmac_f32_e32 v22, v8, v4
	v_fmac_f32_e32 v2, v9, v4
	v_fmac_f32_e32 v22, v9, v5
	v_fma_f32 v26, v8, -v5, v2
	ds_read2_b64 v[2:5], v38 offset1:32
	ds_read_b128 v[6:9], v33 offset:64
	s_waitcnt lgkmcnt(2)
	v_fmac_f32_e32 v22, v48, v10
	v_fmac_f32_e32 v26, v49, v10
	v_fmac_f32_e32 v22, v49, v11
	v_fma_f32 v10, v48, -v11, v26
	v_fmac_f32_e32 v22, v50, v12
	v_fmac_f32_e32 v10, v51, v12
	v_fmac_f32_e32 v22, v51, v13
	v_fma_f32 v26, v50, -v13, v10
	ds_read2_b64 v[10:13], v38 offset0:64 offset1:96
	ds_read_b128 v[48:51], v33 offset:80
	s_waitcnt lgkmcnt(2)
	v_fmac_f32_e32 v22, v2, v6
	v_fmac_f32_e32 v26, v3, v6
	v_fmac_f32_e32 v22, v3, v7
	v_fma_f32 v2, v2, -v7, v26
	v_fmac_f32_e32 v22, v4, v8
	v_fmac_f32_e32 v2, v5, v8
	v_fmac_f32_e32 v22, v5, v9
	v_fma_f32 v26, v4, -v9, v2
	ds_read2_b64 v[2:5], v38 offset0:128 offset1:160
	ds_read_b128 v[6:9], v33 offset:96
	s_waitcnt lgkmcnt(2)
	v_fmac_f32_e32 v22, v10, v48
	v_fmac_f32_e32 v26, v11, v48
	v_fmac_f32_e32 v22, v11, v49
	v_fma_f32 v10, v10, -v49, v26
	v_fmac_f32_e32 v22, v12, v50
	v_fmac_f32_e32 v10, v13, v50
	v_fmac_f32_e32 v22, v13, v51
	v_fma_f32 v26, v12, -v51, v10
	ds_read2_b64 v[10:13], v38 offset0:192 offset1:224
	ds_read_b128 v[48:51], v33 offset:112
	s_waitcnt lgkmcnt(2)
	v_fmac_f32_e32 v22, v2, v6
	v_fmac_f32_e32 v26, v3, v6
	v_fmac_f32_e32 v22, v3, v7
	v_fma_f32 v2, v2, -v7, v26
	v_fmac_f32_e32 v22, v4, v8
	v_fmac_f32_e32 v2, v5, v8
	v_fmac_f32_e32 v22, v5, v9
	v_fma_f32 v26, v4, -v9, v2
	ds_read2_b64 v[2:5], v40 offset1:32
	ds_read_b128 v[6:9], v33 offset:128
	s_waitcnt lgkmcnt(2)
	v_fmac_f32_e32 v22, v10, v48
	v_fmac_f32_e32 v26, v11, v48
	v_fmac_f32_e32 v22, v11, v49
	v_fma_f32 v10, v10, -v49, v26
	v_fmac_f32_e32 v22, v12, v50
	v_fmac_f32_e32 v10, v13, v50
	v_fmac_f32_e32 v22, v13, v51
	v_fma_f32 v26, v12, -v51, v10
	ds_read2_b64 v[10:13], v40 offset0:64 offset1:96
	ds_read_b128 v[48:51], v33 offset:144
	s_waitcnt lgkmcnt(2)
	v_fmac_f32_e32 v22, v2, v6
	v_fmac_f32_e32 v26, v3, v6
	v_fmac_f32_e32 v22, v3, v7
	v_fma_f32 v2, v2, -v7, v26
	v_fmac_f32_e32 v22, v4, v8
	v_fmac_f32_e32 v2, v5, v8
	v_fmac_f32_e32 v22, v5, v9
	v_fma_f32 v26, v4, -v9, v2
	ds_read2_b64 v[2:5], v40 offset0:128 offset1:160
	ds_read_b128 v[6:9], v33 offset:160
	s_waitcnt lgkmcnt(2)
	v_fmac_f32_e32 v22, v10, v48
	v_fmac_f32_e32 v26, v11, v48
	v_fmac_f32_e32 v22, v11, v49
	v_fma_f32 v10, v10, -v49, v26
	v_fmac_f32_e32 v22, v12, v50
	v_fmac_f32_e32 v10, v13, v50
	v_fmac_f32_e32 v22, v13, v51
	v_fma_f32 v26, v12, -v51, v10
	ds_read2_b64 v[10:13], v40 offset0:192 offset1:224
	ds_read_b128 v[48:51], v33 offset:176
	;; [unrolled: 44-line block ×3, first 2 shown]
	s_waitcnt lgkmcnt(2)
	v_fmac_f32_e32 v22, v2, v6
	v_fmac_f32_e32 v26, v3, v6
	;; [unrolled: 1-line block ×3, first 2 shown]
	v_fma_f32 v2, v2, -v7, v26
	v_fmac_f32_e32 v22, v4, v8
	v_fmac_f32_e32 v2, v5, v8
	v_fmac_f32_e32 v22, v5, v9
	v_fma_f32 v2, v4, -v9, v2
	s_waitcnt lgkmcnt(0)
	v_fmac_f32_e32 v22, v10, v48
	v_fmac_f32_e32 v2, v11, v48
	v_fmac_f32_e32 v22, v11, v49
	v_fma_f32 v2, v10, -v49, v2
	v_fmac_f32_e32 v22, v12, v50
	v_fmac_f32_e32 v2, v13, v50
	;; [unrolled: 1-line block ×3, first 2 shown]
	v_fma_f32 v10, v12, -v51, v2
.LBB6_40:                               ;   in Loop: Header=BB6_14 Depth=3
	s_mov_b32 s35, 0
.LBB6_41:                               ;   in Loop: Header=BB6_14 Depth=3
	s_andn2_b32 vcc_lo, exec_lo, s35
	s_cbranch_vccnz .LBB6_12
; %bb.42:                               ;   in Loop: Header=BB6_14 Depth=3
	s_waitcnt lgkmcnt(1)
	ds_read2_b64 v[2:5], v28 offset1:32
	ds_read_b128 v[6:9], v33
	ds_read_b128 v[10:13], v33 offset:16
	ds_read2_b64 v[48:51], v28 offset0:64 offset1:96
	s_waitcnt lgkmcnt(2)
	v_fmac_f32_e32 v47, v2, v6
	v_fma_f32 v6, -v3, v6, v46
	v_fma_f32 v3, v3, -v7, v47
	v_fma_f32 v2, v2, -v7, v6
	v_fmac_f32_e32 v3, v4, v8
	v_fma_f32 v2, -v5, v8, v2
	v_fma_f32 v22, v5, -v9, v3
	v_fma_f32 v26, v4, -v9, v2
	ds_read_b128 v[2:5], v33 offset:32
	ds_read2_b64 v[6:9], v28 offset0:128 offset1:160
	s_waitcnt lgkmcnt(2)
	v_fmac_f32_e32 v22, v48, v10
	v_fma_f32 v10, -v49, v10, v26
	v_fma_f32 v22, v49, -v11, v22
	v_fma_f32 v10, v48, -v11, v10
	v_fmac_f32_e32 v22, v50, v12
	v_fma_f32 v10, -v51, v12, v10
	v_fma_f32 v22, v51, -v13, v22
	v_fma_f32 v26, v50, -v13, v10
	ds_read_b128 v[10:13], v33 offset:48
	ds_read2_b64 v[46:49], v28 offset0:192 offset1:224
	s_waitcnt lgkmcnt(2)
	v_fmac_f32_e32 v22, v6, v2
	v_fma_f32 v2, -v7, v2, v26
	v_fma_f32 v7, v7, -v3, v22
	v_fma_f32 v2, v6, -v3, v2
	v_fmac_f32_e32 v7, v8, v4
	v_fma_f32 v2, -v9, v4, v2
	v_fma_f32 v22, v9, -v5, v7
	v_fma_f32 v26, v8, -v5, v2
	ds_read2_b64 v[2:5], v38 offset1:32
	ds_read_b128 v[6:9], v33 offset:64
	s_waitcnt lgkmcnt(2)
	v_fmac_f32_e32 v22, v46, v10
	v_fma_f32 v10, -v47, v10, v26
	v_fma_f32 v22, v47, -v11, v22
	v_fma_f32 v10, v46, -v11, v10
	v_fmac_f32_e32 v22, v48, v12
	v_fma_f32 v10, -v49, v12, v10
	v_fma_f32 v22, v49, -v13, v22
	v_fma_f32 v26, v48, -v13, v10
	ds_read2_b64 v[10:13], v38 offset0:64 offset1:96
	ds_read_b128 v[46:49], v33 offset:80
	s_waitcnt lgkmcnt(2)
	v_fmac_f32_e32 v22, v2, v6
	v_fma_f32 v6, -v3, v6, v26
	v_fma_f32 v3, v3, -v7, v22
	v_fma_f32 v2, v2, -v7, v6
	v_fmac_f32_e32 v3, v4, v8
	v_fma_f32 v2, -v5, v8, v2
	v_fma_f32 v22, v5, -v9, v3
	v_fma_f32 v26, v4, -v9, v2
	ds_read2_b64 v[2:5], v38 offset0:128 offset1:160
	ds_read_b128 v[6:9], v33 offset:96
	s_waitcnt lgkmcnt(2)
	v_fmac_f32_e32 v22, v10, v46
	v_fma_f32 v26, -v11, v46, v26
	v_fma_f32 v11, v11, -v47, v22
	v_fma_f32 v10, v10, -v47, v26
	v_fmac_f32_e32 v11, v12, v48
	v_fma_f32 v10, -v13, v48, v10
	v_fma_f32 v22, v13, -v49, v11
	v_fma_f32 v26, v12, -v49, v10
	ds_read2_b64 v[10:13], v38 offset0:192 offset1:224
	ds_read_b128 v[46:49], v33 offset:112
	s_waitcnt lgkmcnt(2)
	v_fmac_f32_e32 v22, v2, v6
	v_fma_f32 v6, -v3, v6, v26
	v_fma_f32 v3, v3, -v7, v22
	v_fma_f32 v2, v2, -v7, v6
	v_fmac_f32_e32 v3, v4, v8
	v_fma_f32 v2, -v5, v8, v2
	v_fma_f32 v22, v5, -v9, v3
	v_fma_f32 v26, v4, -v9, v2
	ds_read2_b64 v[2:5], v40 offset1:32
	ds_read_b128 v[6:9], v33 offset:128
	s_waitcnt lgkmcnt(2)
	v_fmac_f32_e32 v22, v10, v46
	v_fma_f32 v26, -v11, v46, v26
	v_fma_f32 v11, v11, -v47, v22
	v_fma_f32 v10, v10, -v47, v26
	v_fmac_f32_e32 v11, v12, v48
	v_fma_f32 v10, -v13, v48, v10
	v_fma_f32 v22, v13, -v49, v11
	v_fma_f32 v26, v12, -v49, v10
	ds_read2_b64 v[10:13], v40 offset0:64 offset1:96
	ds_read_b128 v[46:49], v33 offset:144
	s_waitcnt lgkmcnt(2)
	v_fmac_f32_e32 v22, v2, v6
	v_fma_f32 v6, -v3, v6, v26
	v_fma_f32 v3, v3, -v7, v22
	v_fma_f32 v2, v2, -v7, v6
	v_fmac_f32_e32 v3, v4, v8
	v_fma_f32 v2, -v5, v8, v2
	v_fma_f32 v22, v5, -v9, v3
	v_fma_f32 v26, v4, -v9, v2
	ds_read2_b64 v[2:5], v40 offset0:128 offset1:160
	ds_read_b128 v[6:9], v33 offset:160
	s_waitcnt lgkmcnt(2)
	v_fmac_f32_e32 v22, v10, v46
	v_fma_f32 v26, -v11, v46, v26
	v_fma_f32 v11, v11, -v47, v22
	v_fma_f32 v10, v10, -v47, v26
	v_fmac_f32_e32 v11, v12, v48
	v_fma_f32 v10, -v13, v48, v10
	v_fma_f32 v22, v13, -v49, v11
	v_fma_f32 v26, v12, -v49, v10
	ds_read2_b64 v[10:13], v40 offset0:192 offset1:224
	ds_read_b128 v[46:49], v33 offset:176
	s_waitcnt lgkmcnt(2)
	v_fmac_f32_e32 v22, v2, v6
	v_fma_f32 v6, -v3, v6, v26
	v_fma_f32 v3, v3, -v7, v22
	v_fma_f32 v2, v2, -v7, v6
	v_fmac_f32_e32 v3, v4, v8
	v_fma_f32 v2, -v5, v8, v2
	v_fma_f32 v22, v5, -v9, v3
	v_fma_f32 v26, v4, -v9, v2
	;; [unrolled: 44-line block ×3, first 2 shown]
	s_waitcnt lgkmcnt(0)
	v_fmac_f32_e32 v3, v10, v46
	v_fma_f32 v2, -v11, v46, v2
	v_fma_f32 v3, v11, -v47, v3
	v_fma_f32 v2, v10, -v47, v2
	v_fmac_f32_e32 v3, v12, v48
	v_fma_f32 v2, -v13, v48, v2
	v_fma_f32 v22, v13, -v49, v3
	v_fma_f32 v10, v12, -v49, v2
	s_branch .LBB6_12
.LBB6_43:                               ;   in Loop: Header=BB6_14 Depth=3
	s_mov_b32 s35, 0
                                        ; implicit-def: $vgpr2
	s_cbranch_execz .LBB6_28
.LBB6_44:                               ;   in Loop: Header=BB6_14 Depth=3
                                        ; implicit-def: $vgpr2
	s_and_saveexec_b32 s37, s36
; %bb.45:                               ;   in Loop: Header=BB6_14 Depth=3
	v_add_nc_u32_e32 v2, v3, v44
	s_or_b32 s35, s35, exec_lo
; %bb.46:                               ;   in Loop: Header=BB6_14 Depth=3
	s_or_b32 exec_lo, exec_lo, s37
	v_mov_b32_e32 v3, 0
	v_mov_b32_e32 v4, 0
	s_and_saveexec_b32 s36, s35
	s_cbranch_execnz .LBB6_29
	s_branch .LBB6_30
.LBB6_47:                               ;   in Loop: Header=BB6_8 Depth=1
	v_add_nc_u32_e32 v2, s4, v24
	s_and_b32 vcc_lo, exec_lo, s16
	s_mov_b32 s1, -1
                                        ; implicit-def: $vgpr4_vgpr5
	v_ashrrev_i32_e32 v3, 31, v2
	s_cbranch_vccnz .LBB6_50
; %bb.48:                               ;   in Loop: Header=BB6_8 Depth=1
	s_andn2_b32 vcc_lo, exec_lo, s1
	s_cbranch_vccz .LBB6_51
.LBB6_49:                               ;   in Loop: Header=BB6_8 Depth=1
	v_cmp_gt_i32_e32 vcc_lo, s19, v24
	s_and_b32 s30, s25, vcc_lo
	s_and_saveexec_b32 s1, s30
	s_cbranch_execz .LBB6_7
	s_branch .LBB6_52
.LBB6_50:                               ;   in Loop: Header=BB6_8 Depth=1
	v_mad_u64_u32 v[4:5], null, s22, v2, v[18:19]
	v_mul_lo_u32 v6, s22, v3
	v_mul_lo_u32 v7, s23, v2
	v_add3_u32 v5, v7, v5, v6
	s_cbranch_execnz .LBB6_49
.LBB6_51:                               ;   in Loop: Header=BB6_8 Depth=1
	v_add_co_u32 v4, vcc_lo, v20, v2
	v_add_co_ci_u32_e64 v5, null, v21, v3, vcc_lo
	v_cmp_gt_i32_e32 vcc_lo, s19, v24
	s_and_b32 s30, s25, vcc_lo
	s_and_saveexec_b32 s1, s30
	s_cbranch_execz .LBB6_7
.LBB6_52:                               ;   in Loop: Header=BB6_8 Depth=1
	v_mul_f32_e64 v2, v46, -v15
	v_mul_f32_e32 v3, v14, v46
	v_lshlrev_b64 v[4:5], 3, v[4:5]
	v_fmac_f32_e32 v2, v14, v47
	v_fmac_f32_e32 v3, v15, v47
	s_and_saveexec_b32 s30, s26
	s_xor_b32 s30, exec_lo, s30
	s_cbranch_execz .LBB6_54
; %bb.53:                               ;   in Loop: Header=BB6_8 Depth=1
	v_add_co_u32 v4, vcc_lo, s20, v4
	v_add_co_ci_u32_e64 v5, null, s21, v5, vcc_lo
	global_load_dwordx2 v[6:7], v[4:5], off
	s_waitcnt vmcnt(0)
	v_fmac_f32_e32 v2, v16, v6
	v_fmac_f32_e32 v3, v17, v6
	v_fma_f32 v2, -v17, v7, v2
	v_fmac_f32_e32 v3, v16, v7
	global_store_dwordx2 v[4:5], v[2:3], off
                                        ; implicit-def: $vgpr4_vgpr5
                                        ; implicit-def: $vgpr2
.LBB6_54:                               ;   in Loop: Header=BB6_8 Depth=1
	s_andn2_saveexec_b32 s30, s30
	s_cbranch_execz .LBB6_7
; %bb.55:                               ;   in Loop: Header=BB6_8 Depth=1
	v_add_co_u32 v4, vcc_lo, s20, v4
	v_add_co_ci_u32_e64 v5, null, s21, v5, vcc_lo
	global_store_dwordx2 v[4:5], v[2:3], off
	s_branch .LBB6_7
.LBB6_56:
	s_endpgm
	.section	.rodata,"a",@progbits
	.p2align	6, 0x0
	.amdhsa_kernel _ZN9rocsparseL30bellmm_general_blockdim_kernelILi32ELi32E21rocsparse_complex_numIfEiS2_S2_S2_EEv20rocsparse_operation_S3_20rocsparse_direction_T2_S5_NS_24const_host_device_scalarIT1_EES5_S5_PKS5_PKT3_PKT4_l16rocsparse_order_S8_PT5_lSH_21rocsparse_index_base_b
		.amdhsa_group_segment_fixed_size 16384
		.amdhsa_private_segment_fixed_size 0
		.amdhsa_kernarg_size 116
		.amdhsa_user_sgpr_count 6
		.amdhsa_user_sgpr_private_segment_buffer 1
		.amdhsa_user_sgpr_dispatch_ptr 0
		.amdhsa_user_sgpr_queue_ptr 0
		.amdhsa_user_sgpr_kernarg_segment_ptr 1
		.amdhsa_user_sgpr_dispatch_id 0
		.amdhsa_user_sgpr_flat_scratch_init 0
		.amdhsa_user_sgpr_private_segment_size 0
		.amdhsa_wavefront_size32 1
		.amdhsa_uses_dynamic_stack 0
		.amdhsa_system_sgpr_private_segment_wavefront_offset 0
		.amdhsa_system_sgpr_workgroup_id_x 1
		.amdhsa_system_sgpr_workgroup_id_y 1
		.amdhsa_system_sgpr_workgroup_id_z 0
		.amdhsa_system_sgpr_workgroup_info 0
		.amdhsa_system_vgpr_workitem_id 1
		.amdhsa_next_free_vgpr 62
		.amdhsa_next_free_sgpr 39
		.amdhsa_reserve_vcc 1
		.amdhsa_reserve_flat_scratch 0
		.amdhsa_float_round_mode_32 0
		.amdhsa_float_round_mode_16_64 0
		.amdhsa_float_denorm_mode_32 3
		.amdhsa_float_denorm_mode_16_64 3
		.amdhsa_dx10_clamp 1
		.amdhsa_ieee_mode 1
		.amdhsa_fp16_overflow 0
		.amdhsa_workgroup_processor_mode 1
		.amdhsa_memory_ordered 1
		.amdhsa_forward_progress 1
		.amdhsa_shared_vgpr_count 0
		.amdhsa_exception_fp_ieee_invalid_op 0
		.amdhsa_exception_fp_denorm_src 0
		.amdhsa_exception_fp_ieee_div_zero 0
		.amdhsa_exception_fp_ieee_overflow 0
		.amdhsa_exception_fp_ieee_underflow 0
		.amdhsa_exception_fp_ieee_inexact 0
		.amdhsa_exception_int_div_zero 0
	.end_amdhsa_kernel
	.section	.text._ZN9rocsparseL30bellmm_general_blockdim_kernelILi32ELi32E21rocsparse_complex_numIfEiS2_S2_S2_EEv20rocsparse_operation_S3_20rocsparse_direction_T2_S5_NS_24const_host_device_scalarIT1_EES5_S5_PKS5_PKT3_PKT4_l16rocsparse_order_S8_PT5_lSH_21rocsparse_index_base_b,"axG",@progbits,_ZN9rocsparseL30bellmm_general_blockdim_kernelILi32ELi32E21rocsparse_complex_numIfEiS2_S2_S2_EEv20rocsparse_operation_S3_20rocsparse_direction_T2_S5_NS_24const_host_device_scalarIT1_EES5_S5_PKS5_PKT3_PKT4_l16rocsparse_order_S8_PT5_lSH_21rocsparse_index_base_b,comdat
.Lfunc_end6:
	.size	_ZN9rocsparseL30bellmm_general_blockdim_kernelILi32ELi32E21rocsparse_complex_numIfEiS2_S2_S2_EEv20rocsparse_operation_S3_20rocsparse_direction_T2_S5_NS_24const_host_device_scalarIT1_EES5_S5_PKS5_PKT3_PKT4_l16rocsparse_order_S8_PT5_lSH_21rocsparse_index_base_b, .Lfunc_end6-_ZN9rocsparseL30bellmm_general_blockdim_kernelILi32ELi32E21rocsparse_complex_numIfEiS2_S2_S2_EEv20rocsparse_operation_S3_20rocsparse_direction_T2_S5_NS_24const_host_device_scalarIT1_EES5_S5_PKS5_PKT3_PKT4_l16rocsparse_order_S8_PT5_lSH_21rocsparse_index_base_b
                                        ; -- End function
	.set _ZN9rocsparseL30bellmm_general_blockdim_kernelILi32ELi32E21rocsparse_complex_numIfEiS2_S2_S2_EEv20rocsparse_operation_S3_20rocsparse_direction_T2_S5_NS_24const_host_device_scalarIT1_EES5_S5_PKS5_PKT3_PKT4_l16rocsparse_order_S8_PT5_lSH_21rocsparse_index_base_b.num_vgpr, 62
	.set _ZN9rocsparseL30bellmm_general_blockdim_kernelILi32ELi32E21rocsparse_complex_numIfEiS2_S2_S2_EEv20rocsparse_operation_S3_20rocsparse_direction_T2_S5_NS_24const_host_device_scalarIT1_EES5_S5_PKS5_PKT3_PKT4_l16rocsparse_order_S8_PT5_lSH_21rocsparse_index_base_b.num_agpr, 0
	.set _ZN9rocsparseL30bellmm_general_blockdim_kernelILi32ELi32E21rocsparse_complex_numIfEiS2_S2_S2_EEv20rocsparse_operation_S3_20rocsparse_direction_T2_S5_NS_24const_host_device_scalarIT1_EES5_S5_PKS5_PKT3_PKT4_l16rocsparse_order_S8_PT5_lSH_21rocsparse_index_base_b.numbered_sgpr, 39
	.set _ZN9rocsparseL30bellmm_general_blockdim_kernelILi32ELi32E21rocsparse_complex_numIfEiS2_S2_S2_EEv20rocsparse_operation_S3_20rocsparse_direction_T2_S5_NS_24const_host_device_scalarIT1_EES5_S5_PKS5_PKT3_PKT4_l16rocsparse_order_S8_PT5_lSH_21rocsparse_index_base_b.num_named_barrier, 0
	.set _ZN9rocsparseL30bellmm_general_blockdim_kernelILi32ELi32E21rocsparse_complex_numIfEiS2_S2_S2_EEv20rocsparse_operation_S3_20rocsparse_direction_T2_S5_NS_24const_host_device_scalarIT1_EES5_S5_PKS5_PKT3_PKT4_l16rocsparse_order_S8_PT5_lSH_21rocsparse_index_base_b.private_seg_size, 0
	.set _ZN9rocsparseL30bellmm_general_blockdim_kernelILi32ELi32E21rocsparse_complex_numIfEiS2_S2_S2_EEv20rocsparse_operation_S3_20rocsparse_direction_T2_S5_NS_24const_host_device_scalarIT1_EES5_S5_PKS5_PKT3_PKT4_l16rocsparse_order_S8_PT5_lSH_21rocsparse_index_base_b.uses_vcc, 1
	.set _ZN9rocsparseL30bellmm_general_blockdim_kernelILi32ELi32E21rocsparse_complex_numIfEiS2_S2_S2_EEv20rocsparse_operation_S3_20rocsparse_direction_T2_S5_NS_24const_host_device_scalarIT1_EES5_S5_PKS5_PKT3_PKT4_l16rocsparse_order_S8_PT5_lSH_21rocsparse_index_base_b.uses_flat_scratch, 0
	.set _ZN9rocsparseL30bellmm_general_blockdim_kernelILi32ELi32E21rocsparse_complex_numIfEiS2_S2_S2_EEv20rocsparse_operation_S3_20rocsparse_direction_T2_S5_NS_24const_host_device_scalarIT1_EES5_S5_PKS5_PKT3_PKT4_l16rocsparse_order_S8_PT5_lSH_21rocsparse_index_base_b.has_dyn_sized_stack, 0
	.set _ZN9rocsparseL30bellmm_general_blockdim_kernelILi32ELi32E21rocsparse_complex_numIfEiS2_S2_S2_EEv20rocsparse_operation_S3_20rocsparse_direction_T2_S5_NS_24const_host_device_scalarIT1_EES5_S5_PKS5_PKT3_PKT4_l16rocsparse_order_S8_PT5_lSH_21rocsparse_index_base_b.has_recursion, 0
	.set _ZN9rocsparseL30bellmm_general_blockdim_kernelILi32ELi32E21rocsparse_complex_numIfEiS2_S2_S2_EEv20rocsparse_operation_S3_20rocsparse_direction_T2_S5_NS_24const_host_device_scalarIT1_EES5_S5_PKS5_PKT3_PKT4_l16rocsparse_order_S8_PT5_lSH_21rocsparse_index_base_b.has_indirect_call, 0
	.section	.AMDGPU.csdata,"",@progbits
; Kernel info:
; codeLenInByte = 5896
; TotalNumSgprs: 41
; NumVgprs: 62
; ScratchSize: 0
; MemoryBound: 0
; FloatMode: 240
; IeeeMode: 1
; LDSByteSize: 16384 bytes/workgroup (compile time only)
; SGPRBlocks: 0
; VGPRBlocks: 7
; NumSGPRsForWavesPerEU: 41
; NumVGPRsForWavesPerEU: 62
; Occupancy: 16
; WaveLimiterHint : 0
; COMPUTE_PGM_RSRC2:SCRATCH_EN: 0
; COMPUTE_PGM_RSRC2:USER_SGPR: 6
; COMPUTE_PGM_RSRC2:TRAP_HANDLER: 0
; COMPUTE_PGM_RSRC2:TGID_X_EN: 1
; COMPUTE_PGM_RSRC2:TGID_Y_EN: 1
; COMPUTE_PGM_RSRC2:TGID_Z_EN: 0
; COMPUTE_PGM_RSRC2:TIDIG_COMP_CNT: 1
	.section	.text._ZN9rocsparseL30bellmm_general_blockdim_kernelILi32ELi32E21rocsparse_complex_numIfElS2_S2_S2_EEv20rocsparse_operation_S3_20rocsparse_direction_T2_S5_NS_24const_host_device_scalarIT1_EES5_S5_PKS5_PKT3_PKT4_l16rocsparse_order_S8_PT5_lSH_21rocsparse_index_base_b,"axG",@progbits,_ZN9rocsparseL30bellmm_general_blockdim_kernelILi32ELi32E21rocsparse_complex_numIfElS2_S2_S2_EEv20rocsparse_operation_S3_20rocsparse_direction_T2_S5_NS_24const_host_device_scalarIT1_EES5_S5_PKS5_PKT3_PKT4_l16rocsparse_order_S8_PT5_lSH_21rocsparse_index_base_b,comdat
	.globl	_ZN9rocsparseL30bellmm_general_blockdim_kernelILi32ELi32E21rocsparse_complex_numIfElS2_S2_S2_EEv20rocsparse_operation_S3_20rocsparse_direction_T2_S5_NS_24const_host_device_scalarIT1_EES5_S5_PKS5_PKT3_PKT4_l16rocsparse_order_S8_PT5_lSH_21rocsparse_index_base_b ; -- Begin function _ZN9rocsparseL30bellmm_general_blockdim_kernelILi32ELi32E21rocsparse_complex_numIfElS2_S2_S2_EEv20rocsparse_operation_S3_20rocsparse_direction_T2_S5_NS_24const_host_device_scalarIT1_EES5_S5_PKS5_PKT3_PKT4_l16rocsparse_order_S8_PT5_lSH_21rocsparse_index_base_b
	.p2align	8
	.type	_ZN9rocsparseL30bellmm_general_blockdim_kernelILi32ELi32E21rocsparse_complex_numIfElS2_S2_S2_EEv20rocsparse_operation_S3_20rocsparse_direction_T2_S5_NS_24const_host_device_scalarIT1_EES5_S5_PKS5_PKT3_PKT4_l16rocsparse_order_S8_PT5_lSH_21rocsparse_index_base_b,@function
_ZN9rocsparseL30bellmm_general_blockdim_kernelILi32ELi32E21rocsparse_complex_numIfElS2_S2_S2_EEv20rocsparse_operation_S3_20rocsparse_direction_T2_S5_NS_24const_host_device_scalarIT1_EES5_S5_PKS5_PKT3_PKT4_l16rocsparse_order_S8_PT5_lSH_21rocsparse_index_base_b: ; @_ZN9rocsparseL30bellmm_general_blockdim_kernelILi32ELi32E21rocsparse_complex_numIfElS2_S2_S2_EEv20rocsparse_operation_S3_20rocsparse_direction_T2_S5_NS_24const_host_device_scalarIT1_EES5_S5_PKS5_PKT3_PKT4_l16rocsparse_order_S8_PT5_lSH_21rocsparse_index_base_b
; %bb.0:
	s_clause 0x2
	s_load_dwordx4 s[24:27], s[4:5], 0x78
	s_load_dwordx8 s[8:15], s[4:5], 0x10
	s_load_dwordx2 s[2:3], s[4:5], 0x60
	s_add_u32 s1, s4, 32
	s_mov_b32 s0, s7
	s_addc_u32 s7, s5, 0
	s_add_u32 s16, s4, 0x60
	s_addc_u32 s17, s5, 0
	s_waitcnt lgkmcnt(0)
	s_bitcmp1_b32 s26, 0
	s_cselect_b32 s1, s1, s12
	s_cselect_b32 s7, s7, s13
	v_mov_b32_e32 v2, s1
	v_mov_b32_e32 v3, s7
	s_cselect_b32 s1, s16, s2
	s_cselect_b32 s2, s17, s3
	flat_load_dwordx2 v[14:15], v[2:3]
	v_mov_b32_e32 v2, s1
	v_mov_b32_e32 v3, s2
	flat_load_dwordx2 v[16:17], v[2:3]
	s_waitcnt vmcnt(1) lgkmcnt(1)
	v_cmp_eq_f32_e32 vcc_lo, 0, v14
	v_cmp_eq_f32_e64 s1, 0, v15
	s_and_b32 s3, vcc_lo, s1
	s_mov_b32 s1, -1
	s_and_saveexec_b32 s2, s3
	s_cbranch_execz .LBB7_2
; %bb.1:
	s_waitcnt vmcnt(0) lgkmcnt(0)
	v_cmp_neq_f32_e32 vcc_lo, 1.0, v16
	v_cmp_neq_f32_e64 s1, 0, v17
	s_or_b32 s1, vcc_lo, s1
	s_orn2_b32 s1, s1, exec_lo
.LBB7_2:
	s_or_b32 exec_lo, exec_lo, s2
	s_and_saveexec_b32 s2, s1
	s_cbranch_execz .LBB7_54
; %bb.3:
	s_load_dwordx2 s[2:3], s[4:5], 0x30
	s_mov_b32 s7, 0
	s_mov_b64 s[26:27], 0
	v_cmp_le_i64_e64 s1, s[8:9], s[6:7]
	v_cmp_gt_i64_e64 s42, s[8:9], s[6:7]
	s_and_b32 vcc_lo, exec_lo, s1
	s_cbranch_vccnz .LBB7_7
; %bb.4:
	s_waitcnt lgkmcnt(0)
	s_or_b64 s[12:13], s[14:15], s[2:3]
	s_mov_b32 s12, s7
	s_cmp_lg_u64 s[12:13], 0
	s_cbranch_scc0 .LBB7_55
; %bb.5:
	s_ashr_i32 s12, s3, 31
	s_add_u32 s16, s2, s12
	s_mov_b32 s13, s12
	s_addc_u32 s17, s3, s12
	s_xor_b64 s[16:17], s[16:17], s[12:13]
	v_cvt_f32_u32_e32 v2, s16
	v_cvt_f32_u32_e32 v3, s17
	s_sub_u32 s18, 0, s16
	s_subb_u32 s19, 0, s17
	v_fmamk_f32 v2, v3, 0x4f800000, v2
	v_rcp_f32_e32 v2, v2
	v_mul_f32_e32 v2, 0x5f7ffffc, v2
	v_mul_f32_e32 v3, 0x2f800000, v2
	v_trunc_f32_e32 v3, v3
	v_fmamk_f32 v2, v3, 0xcf800000, v2
	v_cvt_u32_f32_e32 v3, v3
	v_cvt_u32_f32_e32 v2, v2
	v_readfirstlane_b32 s1, v3
	v_readfirstlane_b32 s7, v2
	s_mul_i32 s20, s18, s1
	s_mul_hi_u32 s22, s18, s7
	s_mul_i32 s21, s19, s7
	s_add_i32 s20, s22, s20
	s_mul_i32 s23, s18, s7
	s_add_i32 s20, s20, s21
	s_mul_hi_u32 s22, s7, s23
	s_mul_i32 s27, s7, s20
	s_mul_hi_u32 s26, s1, s23
	s_mul_i32 s21, s1, s23
	s_mul_hi_u32 s23, s7, s20
	s_add_u32 s22, s22, s27
	s_addc_u32 s23, 0, s23
	s_mul_hi_u32 s28, s1, s20
	s_add_u32 s21, s22, s21
	s_mul_i32 s20, s1, s20
	s_addc_u32 s21, s23, s26
	s_addc_u32 s22, s28, 0
	s_add_u32 s20, s21, s20
	s_addc_u32 s21, 0, s22
	s_add_u32 s7, s7, s20
	s_cselect_b32 s20, -1, 0
	s_mul_hi_u32 s22, s18, s7
	s_cmp_lg_u32 s20, 0
	s_mul_i32 s20, s18, s7
	s_addc_u32 s1, s1, s21
	s_mul_i32 s19, s19, s7
	s_mul_i32 s18, s18, s1
	s_mul_hi_u32 s21, s7, s20
	s_add_i32 s18, s22, s18
	s_mul_hi_u32 s22, s1, s20
	s_add_i32 s18, s18, s19
	s_mul_i32 s19, s1, s20
	s_mul_i32 s26, s7, s18
	s_mul_hi_u32 s23, s7, s18
	s_add_u32 s21, s21, s26
	s_addc_u32 s23, 0, s23
	s_mul_hi_u32 s20, s1, s18
	s_add_u32 s19, s21, s19
	s_mul_i32 s18, s1, s18
	s_addc_u32 s19, s23, s22
	s_addc_u32 s20, s20, 0
	s_add_u32 s18, s19, s18
	s_addc_u32 s19, 0, s20
	s_add_u32 s7, s7, s18
	s_cselect_b32 s18, -1, 0
	s_cmp_lg_u32 s18, 0
	s_addc_u32 s1, s1, s19
	s_ashr_i32 s18, s15, 31
	s_add_u32 s20, s14, s18
	s_mov_b32 s19, s18
	s_addc_u32 s21, s15, s18
	s_xor_b64 s[20:21], s[20:21], s[18:19]
	s_mul_i32 s22, s20, s1
	s_mul_hi_u32 s23, s20, s7
	s_mul_hi_u32 s15, s20, s1
	;; [unrolled: 1-line block ×3, first 2 shown]
	s_mul_i32 s7, s21, s7
	s_add_u32 s22, s23, s22
	s_addc_u32 s15, 0, s15
	s_mul_hi_u32 s26, s21, s1
	s_add_u32 s7, s22, s7
	s_mul_i32 s1, s21, s1
	s_addc_u32 s7, s15, s27
	s_addc_u32 s15, s26, 0
	s_add_u32 s1, s7, s1
	s_addc_u32 s7, 0, s15
	s_mul_hi_u32 s15, s16, s1
	s_mul_i32 s22, s16, s7
	s_mul_i32 s23, s17, s1
	s_add_i32 s15, s15, s22
	s_mul_i32 s22, s16, s1
	s_add_i32 s15, s15, s23
	s_sub_i32 s23, s21, s15
	s_sub_u32 s20, s20, s22
	s_cselect_b32 s22, -1, 0
	s_cmp_lg_u32 s22, 0
	s_subb_u32 s23, s23, s17
	s_sub_u32 s26, s20, s16
	s_cselect_b32 s27, -1, 0
	s_cmp_lg_u32 s27, 0
	s_subb_u32 s23, s23, 0
	s_cmp_ge_u32 s23, s17
	s_cselect_b32 s27, -1, 0
	s_cmp_ge_u32 s26, s16
	s_cselect_b32 s26, -1, 0
	s_cmp_eq_u32 s23, s17
	s_cselect_b32 s23, s26, s27
	s_add_u32 s26, s1, 1
	s_addc_u32 s27, s7, 0
	s_add_u32 s28, s1, 2
	s_addc_u32 s29, s7, 0
	s_cmp_lg_u32 s23, 0
	s_cselect_b32 s23, s28, s26
	s_cselect_b32 s26, s29, s27
	s_cmp_lg_u32 s22, 0
	s_subb_u32 s15, s21, s15
	s_cmp_ge_u32 s15, s17
	s_cselect_b32 s21, -1, 0
	s_cmp_ge_u32 s20, s16
	s_cselect_b32 s16, -1, 0
	s_cmp_eq_u32 s15, s17
	s_cselect_b32 s15, s16, s21
	s_cmp_lg_u32 s15, 0
	s_cselect_b32 s17, s26, s7
	s_cselect_b32 s16, s23, s1
	s_xor_b64 s[12:13], s[18:19], s[12:13]
	s_xor_b64 s[16:17], s[16:17], s[12:13]
	s_sub_u32 s26, s16, s12
	s_subb_u32 s27, s17, s13
	s_cbranch_execnz .LBB7_7
.LBB7_6:
	v_cvt_f32_u32_e32 v2, s2
	s_sub_i32 s7, 0, s2
	s_mov_b32 s27, 0
	v_rcp_iflag_f32_e32 v2, v2
	v_mul_f32_e32 v2, 0x4f7ffffe, v2
	v_cvt_u32_f32_e32 v2, v2
	v_readfirstlane_b32 s1, v2
	s_mul_i32 s7, s7, s1
	s_mul_hi_u32 s7, s1, s7
	s_add_i32 s1, s1, s7
	s_mul_hi_u32 s1, s14, s1
	s_mul_i32 s7, s1, s2
	s_add_i32 s12, s1, 1
	s_sub_i32 s7, s14, s7
	s_sub_i32 s13, s7, s2
	s_cmp_ge_u32 s7, s2
	s_cselect_b32 s1, s12, s1
	s_cselect_b32 s7, s13, s7
	s_add_i32 s12, s1, 1
	s_cmp_ge_u32 s7, s2
	s_cselect_b32 s26, s12, s1
.LBB7_7:
	s_waitcnt lgkmcnt(0)
	v_cmp_lt_i64_e64 s1, s[2:3], 1
	s_and_b32 vcc_lo, exec_lo, s1
	s_cbranch_vccnz .LBB7_54
; %bb.8:
	s_clause 0x3
	s_load_dwordx4 s[28:31], s[4:5], 0x0
	s_load_dwordx8 s[12:19], s[4:5], 0x38
	s_load_dwordx4 s[20:23], s[4:5], 0x68
	s_load_dword s1, s[4:5], 0x58
	s_mul_i32 s33, s2, s3
	s_mul_hi_u32 s36, s2, s2
	s_mul_i32 s5, s3, s6
	s_waitcnt lgkmcnt(0)
	s_mul_hi_u32 s31, s2, s6
	s_add_i32 s36, s36, s33
	s_lshl_b32 s0, s0, 5
	s_add_i32 s5, s31, s5
	s_add_i32 s33, s36, s33
	v_add_co_u32 v18, s0, s0, v1
	v_add_co_ci_u32_e64 v19, null, 0, 0, s0
	s_mov_b32 s36, s25
	v_lshlrev_b32_e32 v36, 3, v0
	s_mul_i32 s4, s2, s6
	v_lshlrev_b64 v[4:5], 3, v[18:19]
	s_cmpk_eq_i32 s29, 0x6f
	v_cmp_gt_i64_e64 s0, s[10:11], v[18:19]
	s_cselect_b32 s31, -1, 0
	s_cmp_lg_u32 s1, 1
	v_mul_lo_u32 v2, s23, v18
	s_cselect_b32 s25, -1, 0
	s_cmp_lg_u32 s30, 0
	v_add_co_u32 v37, vcc_lo, s16, v4
	s_cselect_b32 s37, -1, 0
	s_cmpk_eq_i32 s29, 0x71
	v_add_co_ci_u32_e64 v38, null, s17, v5, vcc_lo
	s_cselect_b32 s1, -1, 0
	s_cmpk_lg_i32 s29, 0x71
	v_mul_lo_u32 v8, s22, v19
	s_cselect_b32 s10, -1, 0
	s_cmpk_lg_i32 s28, 0x71
	v_mad_u64_u32 v[20:21], null, s22, v18, 0
	s_cselect_b32 s11, -1, 0
	v_mul_lo_u32 v9, s19, v18
	s_and_b32 s28, s11, s1
	v_mul_lo_u32 v10, s18, v19
	v_mad_u64_u32 v[4:5], null, s18, v18, 0
	s_or_b32 s38, s11, s10
	s_xor_b32 s39, s28, -1
	s_or_b32 s40, s11, s1
	s_cmp_lg_u32 s24, 1
	s_waitcnt vmcnt(0)
	v_cmp_neq_f32_e32 vcc_lo, 0, v16
	v_cmp_neq_f32_e64 s1, 0, v17
	s_cselect_b32 s41, -1, 0
	s_xor_b32 s10, s31, s25
	v_add3_u32 v21, v21, v8, v2
	s_xor_b32 s44, s10, -1
	s_lshl_b64 s[10:11], s[4:5], 3
	v_add3_u32 v5, v5, v10, v9
	s_or_b32 s43, vcc_lo, s1
	v_add_co_u32 v8, s1, s10, v36
	v_mov_b32_e32 v3, 0
	v_add_co_ci_u32_e64 v9, null, s11, 0, s1
	v_lshlrev_b32_e32 v2, 3, v1
	v_lshlrev_b64 v[4:5], 3, v[4:5]
	v_mul_lo_u32 v10, s3, v8
	v_mul_lo_u32 v9, s2, v9
	s_mul_i32 s7, s2, s2
	v_mad_u64_u32 v[2:3], null, s2, v8, v[2:3]
	v_add_co_u32 v4, vcc_lo, v4, v36
	v_add_co_ci_u32_e64 v5, null, 0, v5, vcc_lo
	v_or_b32_e32 v6, 0x2000, v36
	v_lshlrev_b32_e32 v7, 8, v1
	v_add3_u32 v3, v10, v3, v9
	v_add_co_u32 v22, vcc_lo, s16, v4
	s_mul_i32 s1, s7, s9
	s_mul_hi_u32 s16, s7, s8
	v_add_co_ci_u32_e64 v23, null, s17, v5, vcc_lo
	v_add_co_u32 v24, vcc_lo, s14, v2
	s_add_i32 s1, s16, s1
	s_mul_i32 s16, s33, s8
	v_cmp_gt_i64_e64 s45, s[26:27], 0
	v_add_nc_u32_e32 v39, 0x2000, v7
	v_add_co_ci_u32_e64 v25, null, s15, v3, vcc_lo
	v_add_nc_u32_e32 v40, v6, v7
	v_add_nc_u32_e32 v41, v36, v7
	;; [unrolled: 1-line block ×8, first 2 shown]
	s_add_i32 s25, s1, s16
	s_mul_i32 s24, s7, s8
	s_mov_b64 s[34:35], 0
	s_and_b32 s42, s42, s0
	s_lshl_b64 s[10:11], s[2:3], 3
	s_lshl_b64 s[16:17], s[2:3], 8
	;; [unrolled: 1-line block ×3, first 2 shown]
	s_branch .LBB7_10
.LBB7_9:                                ;   in Loop: Header=BB7_10 Depth=1
	s_or_b32 exec_lo, exec_lo, s1
	s_add_u32 s34, s34, 32
	s_addc_u32 s35, s35, 0
	v_add_co_u32 v24, vcc_lo, v24, s16
	v_cmp_lt_i64_e64 s1, s[34:35], s[2:3]
	v_add_co_ci_u32_e64 v25, null, s17, v25, vcc_lo
	s_and_b32 vcc_lo, exec_lo, s1
	s_cbranch_vccz .LBB7_54
.LBB7_10:                               ; =>This Loop Header: Depth=1
                                        ;     Child Loop BB7_13 Depth 2
                                        ;       Child Loop BB7_16 Depth 3
	v_add_co_u32 v26, s1, s34, v0
	v_add_co_ci_u32_e64 v27, null, s35, 0, s1
	v_mov_b32_e32 v52, 0
	v_mov_b32_e32 v53, 0
	s_andn2_b32 vcc_lo, exec_lo, s45
	v_cmp_gt_i64_e64 s1, s[2:3], v[26:27]
	s_cbranch_vccnz .LBB7_45
; %bb.11:                               ;   in Loop: Header=BB7_10 Depth=1
	v_lshlrev_b64 v[2:3], 3, v[26:27]
	v_mov_b32_e32 v29, v25
	v_mov_b32_e32 v52, 0
	v_mov_b32_e32 v28, v24
	v_mov_b32_e32 v53, 0
	s_mov_b64 s[28:29], 0
	v_add_co_u32 v48, vcc_lo, s14, v2
	v_add_co_ci_u32_e64 v49, null, s15, v3, vcc_lo
	s_branch .LBB7_13
.LBB7_12:                               ;   in Loop: Header=BB7_13 Depth=2
	v_add_co_u32 v28, vcc_lo, v28, s24
	s_add_u32 s28, s28, 1
	v_add_co_ci_u32_e64 v29, null, s25, v29, vcc_lo
	s_addc_u32 s29, s29, 0
	s_cmp_eq_u64 s[28:29], s[26:27]
	s_cbranch_scc1 .LBB7_45
.LBB7_13:                               ;   Parent Loop BB7_10 Depth=1
                                        ; =>  This Loop Header: Depth=2
                                        ;       Child Loop BB7_16 Depth 3
	s_mul_i32 s30, s28, s9
	s_mul_hi_u32 s31, s28, s8
	s_mul_i32 s46, s28, s8
	s_add_i32 s30, s31, s30
	s_mul_i32 s31, s29, s8
	v_mov_b32_e32 v33, v29
	s_add_i32 s31, s30, s31
	s_add_u32 s30, s46, s6
	s_addc_u32 s31, s31, 0
	s_mul_hi_u32 s46, s7, s30
	s_mul_i32 s47, s7, s31
	s_mul_i32 s49, s33, s30
	s_add_i32 s48, s46, s47
	s_lshl_b64 s[46:47], s[30:31], 3
	s_add_i32 s31, s48, s49
	s_add_u32 s46, s12, s46
	s_addc_u32 s47, s13, s47
	s_mul_i32 s30, s7, s30
	s_load_dwordx2 s[46:47], s[46:47], 0x0
	v_mov_b32_e32 v32, v28
	s_waitcnt lgkmcnt(0)
	s_sub_u32 s48, s46, s36
	s_subb_u32 s49, s47, 0
	v_mad_u64_u32 v[30:31], null, s10, s48, v[22:23]
	s_lshl_b64 s[30:31], s[30:31], 3
	s_mul_i32 s51, s11, s48
	v_add_co_u32 v50, vcc_lo, v48, s30
	s_mul_i32 s30, s10, s49
	s_mul_i32 s47, s48, s3
	s_mul_hi_u32 s50, s48, s2
	v_cmp_gt_i64_e64 s46, s[48:49], -1
	v_add_co_ci_u32_e64 v51, null, s31, v49, vcc_lo
	v_add3_u32 v31, s30, s51, v31
	s_mul_i32 s52, s49, s2
	s_add_i32 s31, s50, s47
	s_mul_i32 s48, s48, s2
	s_add_i32 s47, s31, s52
	s_mov_b64 s[30:31], 0
	s_branch .LBB7_16
.LBB7_14:                               ;   in Loop: Header=BB7_16 Depth=3
	v_mov_b32_e32 v53, v54
	v_mov_b32_e32 v52, v10
.LBB7_15:                               ;   in Loop: Header=BB7_16 Depth=3
	s_add_u32 s30, s30, 32
	s_addc_u32 s31, s31, 0
	v_add_co_u32 v30, vcc_lo, 0x100, v30
	v_cmp_ge_i64_e64 s49, s[30:31], s[2:3]
	v_add_co_ci_u32_e64 v31, null, 0, v31, vcc_lo
	v_add_co_u32 v32, vcc_lo, 0x100, v32
	v_add_co_ci_u32_e64 v33, null, 0, v33, vcc_lo
	s_and_b32 vcc_lo, exec_lo, s49
	s_waitcnt lgkmcnt(0)
	s_barrier
	buffer_gl0_inv
	s_cbranch_vccnz .LBB7_12
.LBB7_16:                               ;   Parent Loop BB7_10 Depth=1
                                        ;     Parent Loop BB7_13 Depth=2
                                        ; =>    This Inner Loop Header: Depth=3
	v_add_co_u32 v4, s49, s30, v0
	v_add_co_ci_u32_e64 v5, null, s31, 0, s49
	v_cmp_gt_i64_e32 vcc_lo, s[2:3], v[4:5]
	s_and_b32 s49, s0, vcc_lo
	s_and_b32 vcc_lo, exec_lo, s44
	s_and_b32 s49, s49, s46
	s_cbranch_vccz .LBB7_20
; %bb.17:                               ;   in Loop: Header=BB7_16 Depth=3
	s_mov_b32 s51, 0
	s_mov_b32 s50, 0
                                        ; implicit-def: $vgpr2_vgpr3
	s_and_saveexec_b32 s52, s49
	s_xor_b32 s52, exec_lo, s52
	s_cbranch_execz .LBB7_19
; %bb.18:                               ;   in Loop: Header=BB7_16 Depth=3
	v_add_co_u32 v2, vcc_lo, v4, s48
	v_add_co_ci_u32_e64 v3, null, s47, v5, vcc_lo
	s_mov_b32 s50, exec_lo
	v_mul_lo_u32 v5, v2, s19
	v_mul_lo_u32 v4, v3, s18
	v_mad_u64_u32 v[2:3], null, v2, s18, 0
	v_add3_u32 v3, v3, v5, v4
	v_lshlrev_b64 v[2:3], 3, v[2:3]
	v_add_co_u32 v2, vcc_lo, v37, v2
	v_add_co_ci_u32_e64 v3, null, v38, v3, vcc_lo
.LBB7_19:                               ;   in Loop: Header=BB7_16 Depth=3
	s_or_b32 exec_lo, exec_lo, s52
	s_and_b32 vcc_lo, exec_lo, s51
	s_cbranch_vccnz .LBB7_21
	s_branch .LBB7_22
.LBB7_20:                               ;   in Loop: Header=BB7_16 Depth=3
	s_mov_b32 s50, 0
                                        ; implicit-def: $vgpr2_vgpr3
	s_cbranch_execz .LBB7_22
.LBB7_21:                               ;   in Loop: Header=BB7_16 Depth=3
	v_mov_b32_e32 v2, v30
	v_mov_b32_e32 v3, v31
	s_andn2_b32 s50, s50, exec_lo
	s_and_b32 s49, s49, exec_lo
	s_or_b32 s50, s50, s49
.LBB7_22:                               ;   in Loop: Header=BB7_16 Depth=3
	v_mov_b32_e32 v6, 0
	v_mov_b32_e32 v7, 0
	s_and_saveexec_b32 s49, s50
	s_cbranch_execz .LBB7_24
; %bb.23:                               ;   in Loop: Header=BB7_16 Depth=3
	global_load_dwordx2 v[6:7], v[2:3], off
.LBB7_24:                               ;   in Loop: Header=BB7_16 Depth=3
	s_or_b32 exec_lo, exec_lo, s49
	v_add_co_u32 v4, s49, s30, v1
	v_add_co_ci_u32_e64 v5, null, s31, 0, s49
	s_waitcnt vmcnt(0)
	ds_write_b64 v40, v[6:7]
	v_cmp_gt_i64_e32 vcc_lo, s[2:3], v[4:5]
	s_and_b32 s49, s1, vcc_lo
	s_and_b32 vcc_lo, exec_lo, s37
	s_and_b32 s49, s49, s46
	s_cbranch_vccz .LBB7_44
; %bb.25:                               ;   in Loop: Header=BB7_16 Depth=3
	s_mov_b32 s51, 0
	s_mov_b32 s50, 0
                                        ; implicit-def: $vgpr2_vgpr3
	s_and_saveexec_b32 s52, s49
	s_xor_b32 s52, exec_lo, s52
	s_cbranch_execz .LBB7_27
; %bb.26:                               ;   in Loop: Header=BB7_16 Depth=3
	v_mul_lo_u32 v5, v5, s2
	v_mul_lo_u32 v6, v4, s3
	v_mad_u64_u32 v[2:3], null, v4, s2, 0
	s_mov_b32 s50, exec_lo
	v_add3_u32 v3, v3, v6, v5
	v_lshlrev_b64 v[2:3], 3, v[2:3]
	v_add_co_u32 v2, vcc_lo, v50, v2
	v_add_co_ci_u32_e64 v3, null, v51, v3, vcc_lo
.LBB7_27:                               ;   in Loop: Header=BB7_16 Depth=3
	s_or_b32 exec_lo, exec_lo, s52
	s_and_b32 vcc_lo, exec_lo, s51
	s_cbranch_vccz .LBB7_29
.LBB7_28:                               ;   in Loop: Header=BB7_16 Depth=3
	v_mov_b32_e32 v2, v32
	v_mov_b32_e32 v3, v33
	s_andn2_b32 s50, s50, exec_lo
	s_and_b32 s49, s49, exec_lo
	s_or_b32 s50, s50, s49
.LBB7_29:                               ;   in Loop: Header=BB7_16 Depth=3
	v_mov_b32_e32 v4, 0
	v_mov_b32_e32 v5, 0
	s_and_saveexec_b32 s49, s50
	s_cbranch_execz .LBB7_31
; %bb.30:                               ;   in Loop: Header=BB7_16 Depth=3
	global_load_dwordx2 v[4:5], v[2:3], off
.LBB7_31:                               ;   in Loop: Header=BB7_16 Depth=3
	s_or_b32 exec_lo, exec_lo, s49
	s_andn2_b32 vcc_lo, exec_lo, s46
	s_waitcnt vmcnt(0)
	ds_write_b64 v41, v[4:5]
	s_waitcnt lgkmcnt(0)
	s_barrier
	buffer_gl0_inv
	s_cbranch_vccnz .LBB7_15
; %bb.32:                               ;   in Loop: Header=BB7_16 Depth=3
	s_and_b32 vcc_lo, exec_lo, s38
	s_mov_b32 s49, -1
                                        ; implicit-def: $vgpr10
                                        ; implicit-def: $vgpr54
	s_cbranch_vccz .LBB7_42
; %bb.33:                               ;   in Loop: Header=BB7_16 Depth=3
	s_and_b32 vcc_lo, exec_lo, s39
                                        ; implicit-def: $vgpr10
                                        ; implicit-def: $vgpr54
	s_cbranch_vccz .LBB7_39
; %bb.34:                               ;   in Loop: Header=BB7_16 Depth=3
	ds_read2_b64 v[2:5], v36 offset1:32
	ds_read_b64 v[34:35], v36 offset:512
	s_andn2_b32 vcc_lo, exec_lo, s40
                                        ; implicit-def: $vgpr10
                                        ; implicit-def: $vgpr54
	s_cbranch_vccnz .LBB7_36
; %bb.35:                               ;   in Loop: Header=BB7_16 Depth=3
	ds_read_b128 v[10:13], v39
	ds_read_b128 v[6:9], v39 offset:16
	ds_read_b64 v[66:67], v36 offset:7936
	ds_read2_b64 v[62:65], v36 offset0:160 offset1:192
	s_mov_b32 s49, 0
	s_waitcnt lgkmcnt(3)
	v_fma_f32 v54, v2, v10, v53
	v_fma_f32 v10, v3, v10, v52
	v_fma_f32 v58, -v3, v11, v54
	v_fmac_f32_e32 v10, v2, v11
	ds_read2_b64 v[54:57], v36 offset0:96 offset1:128
	v_fmac_f32_e32 v58, v4, v12
	v_fmac_f32_e32 v10, v5, v12
	v_fma_f32 v11, -v5, v13, v58
	v_fmac_f32_e32 v10, v4, v13
	ds_read_b128 v[58:61], v39 offset:32
	s_waitcnt lgkmcnt(4)
	v_fmac_f32_e32 v11, v34, v6
	v_fmac_f32_e32 v10, v35, v6
	v_fma_f32 v6, -v35, v7, v11
	v_fmac_f32_e32 v10, v34, v7
	s_waitcnt lgkmcnt(1)
	v_fmac_f32_e32 v6, v54, v8
	v_fmac_f32_e32 v10, v55, v8
	v_fma_f32 v11, -v55, v9, v6
	v_fmac_f32_e32 v10, v54, v9
	ds_read_b128 v[6:9], v39 offset:48
	s_waitcnt lgkmcnt(1)
	v_fmac_f32_e32 v11, v56, v58
	v_fmac_f32_e32 v10, v57, v58
	v_fma_f32 v11, -v57, v59, v11
	v_fmac_f32_e32 v10, v56, v59
	ds_read2_b64 v[54:57], v42 offset0:96 offset1:128
	v_fmac_f32_e32 v11, v62, v60
	v_fmac_f32_e32 v10, v63, v60
	v_fma_f32 v11, -v63, v61, v11
	v_fmac_f32_e32 v10, v62, v61
	ds_read_b128 v[58:61], v39 offset:64
	s_waitcnt lgkmcnt(2)
	v_fmac_f32_e32 v11, v64, v6
	v_fmac_f32_e32 v10, v65, v6
	v_fma_f32 v6, -v65, v7, v11
	v_fmac_f32_e32 v10, v64, v7
	ds_read2_b64 v[62:65], v43 offset0:32 offset1:64
	s_waitcnt lgkmcnt(2)
	v_fmac_f32_e32 v6, v54, v8
	v_fmac_f32_e32 v10, v55, v8
	v_fma_f32 v11, -v55, v9, v6
	v_fmac_f32_e32 v10, v54, v9
	ds_read_b128 v[6:9], v39 offset:80
	s_waitcnt lgkmcnt(2)
	v_fmac_f32_e32 v11, v56, v58
	v_fmac_f32_e32 v10, v57, v58
	v_fma_f32 v11, -v57, v59, v11
	v_fmac_f32_e32 v10, v56, v59
	ds_read2_b64 v[54:57], v43 offset0:96 offset1:128
	s_waitcnt lgkmcnt(2)
	;; [unrolled: 12-line block ×11, first 2 shown]
	v_fmac_f32_e32 v6, v54, v8
	v_fmac_f32_e32 v10, v55, v8
	v_fma_f32 v11, -v55, v9, v6
	v_fmac_f32_e32 v10, v54, v9
	ds_read_b128 v[6:9], v39 offset:240
	s_waitcnt lgkmcnt(2)
	v_fmac_f32_e32 v11, v56, v58
	v_fmac_f32_e32 v10, v57, v58
	v_fma_f32 v11, -v57, v59, v11
	v_fmac_f32_e32 v10, v56, v59
	s_waitcnt lgkmcnt(1)
	v_fmac_f32_e32 v11, v62, v60
	v_fmac_f32_e32 v10, v63, v60
	v_fma_f32 v11, -v63, v61, v11
	v_fmac_f32_e32 v10, v62, v61
	;; [unrolled: 5-line block ×3, first 2 shown]
	v_fmac_f32_e32 v6, v66, v8
	v_fmac_f32_e32 v10, v67, v8
	v_fma_f32 v54, -v67, v9, v6
	v_fmac_f32_e32 v10, v66, v9
.LBB7_36:                               ;   in Loop: Header=BB7_16 Depth=3
	s_andn2_b32 vcc_lo, exec_lo, s49
	s_cbranch_vccnz .LBB7_38
; %bb.37:                               ;   in Loop: Header=BB7_16 Depth=3
	ds_read_b128 v[10:13], v39
	ds_read_b128 v[6:9], v39 offset:16
	ds_read_b64 v[59:60], v36 offset:7936
	ds_read2_b64 v[55:58], v36 offset0:96 offset1:128
	s_waitcnt lgkmcnt(3)
	v_fma_f32 v54, v2, v10, v53
	v_fma_f32 v10, -v3, v10, v52
	v_fmac_f32_e32 v54, v3, v11
	v_fmac_f32_e32 v10, v2, v11
	;; [unrolled: 1-line block ×3, first 2 shown]
	v_fma_f32 v10, -v5, v12, v10
	v_fmac_f32_e32 v54, v5, v13
	v_fmac_f32_e32 v10, v4, v13
	ds_read_b128 v[2:5], v39 offset:32
	s_waitcnt lgkmcnt(3)
	v_fmac_f32_e32 v54, v34, v6
	v_fma_f32 v6, -v35, v6, v10
	ds_read2_b64 v[10:13], v36 offset0:160 offset1:192
	v_fmac_f32_e32 v54, v35, v7
	v_fmac_f32_e32 v6, v34, v7
	s_waitcnt lgkmcnt(2)
	v_fmac_f32_e32 v54, v55, v8
	v_fma_f32 v34, -v56, v8, v6
	v_fmac_f32_e32 v54, v56, v9
	v_fmac_f32_e32 v34, v55, v9
	ds_read_b128 v[6:9], v39 offset:48
	s_waitcnt lgkmcnt(2)
	v_fmac_f32_e32 v54, v57, v2
	v_fma_f32 v2, -v58, v2, v34
	v_fmac_f32_e32 v54, v58, v3
	v_fmac_f32_e32 v2, v57, v3
	ds_read2_b64 v[55:58], v42 offset0:96 offset1:128
	s_waitcnt lgkmcnt(2)
	v_fmac_f32_e32 v54, v10, v4
	v_fma_f32 v34, -v11, v4, v2
	v_fmac_f32_e32 v54, v11, v5
	v_fmac_f32_e32 v34, v10, v5
	ds_read_b128 v[2:5], v39 offset:64
	s_waitcnt lgkmcnt(2)
	v_fmac_f32_e32 v54, v12, v6
	v_fma_f32 v6, -v13, v6, v34
	v_fmac_f32_e32 v54, v13, v7
	v_fmac_f32_e32 v6, v12, v7
	ds_read2_b64 v[10:13], v43 offset0:32 offset1:64
	s_waitcnt lgkmcnt(2)
	v_fmac_f32_e32 v54, v55, v8
	v_fma_f32 v34, -v56, v8, v6
	v_fmac_f32_e32 v54, v56, v9
	v_fmac_f32_e32 v34, v55, v9
	ds_read_b128 v[6:9], v39 offset:80
	s_waitcnt lgkmcnt(2)
	v_fmac_f32_e32 v54, v57, v2
	v_fma_f32 v2, -v58, v2, v34
	v_fmac_f32_e32 v54, v58, v3
	v_fmac_f32_e32 v2, v57, v3
	ds_read2_b64 v[55:58], v43 offset0:96 offset1:128
	s_waitcnt lgkmcnt(2)
	v_fmac_f32_e32 v54, v10, v4
	v_fma_f32 v34, -v11, v4, v2
	v_fmac_f32_e32 v54, v11, v5
	v_fmac_f32_e32 v34, v10, v5
	ds_read_b128 v[2:5], v39 offset:96
	s_waitcnt lgkmcnt(2)
	v_fmac_f32_e32 v54, v12, v6
	v_fma_f32 v6, -v13, v6, v34
	v_fmac_f32_e32 v54, v13, v7
	v_fmac_f32_e32 v6, v12, v7
	ds_read2_b64 v[10:13], v43 offset0:160 offset1:192
	s_waitcnt lgkmcnt(2)
	v_fmac_f32_e32 v54, v55, v8
	v_fma_f32 v34, -v56, v8, v6
	v_fmac_f32_e32 v54, v56, v9
	v_fmac_f32_e32 v34, v55, v9
	ds_read_b128 v[6:9], v39 offset:112
	s_waitcnt lgkmcnt(2)
	v_fmac_f32_e32 v54, v57, v2
	v_fma_f32 v2, -v58, v2, v34
	v_fmac_f32_e32 v54, v58, v3
	v_fmac_f32_e32 v2, v57, v3
	ds_read2_b64 v[55:58], v44 offset0:96 offset1:128
	s_waitcnt lgkmcnt(2)
	v_fmac_f32_e32 v54, v10, v4
	v_fma_f32 v34, -v11, v4, v2
	v_fmac_f32_e32 v54, v11, v5
	v_fmac_f32_e32 v34, v10, v5
	ds_read_b128 v[2:5], v39 offset:128
	s_waitcnt lgkmcnt(2)
	v_fmac_f32_e32 v54, v12, v6
	v_fma_f32 v6, -v13, v6, v34
	v_fmac_f32_e32 v54, v13, v7
	v_fmac_f32_e32 v6, v12, v7
	ds_read2_b64 v[10:13], v45 offset0:32 offset1:64
	s_waitcnt lgkmcnt(2)
	v_fmac_f32_e32 v54, v55, v8
	v_fma_f32 v34, -v56, v8, v6
	v_fmac_f32_e32 v54, v56, v9
	v_fmac_f32_e32 v34, v55, v9
	ds_read_b128 v[6:9], v39 offset:144
	s_waitcnt lgkmcnt(2)
	v_fmac_f32_e32 v54, v57, v2
	v_fma_f32 v2, -v58, v2, v34
	v_fmac_f32_e32 v54, v58, v3
	v_fmac_f32_e32 v2, v57, v3
	ds_read2_b64 v[55:58], v45 offset0:96 offset1:128
	s_waitcnt lgkmcnt(2)
	v_fmac_f32_e32 v54, v10, v4
	v_fma_f32 v34, -v11, v4, v2
	v_fmac_f32_e32 v54, v11, v5
	v_fmac_f32_e32 v34, v10, v5
	ds_read_b128 v[2:5], v39 offset:160
	s_waitcnt lgkmcnt(2)
	v_fmac_f32_e32 v54, v12, v6
	v_fma_f32 v6, -v13, v6, v34
	v_fmac_f32_e32 v54, v13, v7
	v_fmac_f32_e32 v6, v12, v7
	ds_read2_b64 v[10:13], v45 offset0:160 offset1:192
	s_waitcnt lgkmcnt(2)
	v_fmac_f32_e32 v54, v55, v8
	v_fma_f32 v34, -v56, v8, v6
	v_fmac_f32_e32 v54, v56, v9
	v_fmac_f32_e32 v34, v55, v9
	ds_read_b128 v[6:9], v39 offset:176
	s_waitcnt lgkmcnt(2)
	v_fmac_f32_e32 v54, v57, v2
	v_fma_f32 v2, -v58, v2, v34
	v_fmac_f32_e32 v54, v58, v3
	v_fmac_f32_e32 v2, v57, v3
	ds_read2_b64 v[55:58], v46 offset0:96 offset1:128
	s_waitcnt lgkmcnt(2)
	v_fmac_f32_e32 v54, v10, v4
	v_fma_f32 v34, -v11, v4, v2
	v_fmac_f32_e32 v54, v11, v5
	v_fmac_f32_e32 v34, v10, v5
	ds_read_b128 v[2:5], v39 offset:192
	s_waitcnt lgkmcnt(2)
	v_fmac_f32_e32 v54, v12, v6
	v_fma_f32 v6, -v13, v6, v34
	v_fmac_f32_e32 v54, v13, v7
	v_fmac_f32_e32 v6, v12, v7
	ds_read2_b64 v[10:13], v47 offset0:32 offset1:64
	s_waitcnt lgkmcnt(2)
	v_fmac_f32_e32 v54, v55, v8
	v_fma_f32 v34, -v56, v8, v6
	v_fmac_f32_e32 v54, v56, v9
	v_fmac_f32_e32 v34, v55, v9
	ds_read_b128 v[6:9], v39 offset:208
	s_waitcnt lgkmcnt(2)
	v_fmac_f32_e32 v54, v57, v2
	v_fma_f32 v2, -v58, v2, v34
	v_fmac_f32_e32 v54, v58, v3
	v_fmac_f32_e32 v2, v57, v3
	ds_read2_b64 v[55:58], v47 offset0:96 offset1:128
	s_waitcnt lgkmcnt(2)
	v_fmac_f32_e32 v54, v10, v4
	v_fma_f32 v34, -v11, v4, v2
	v_fmac_f32_e32 v54, v11, v5
	v_fmac_f32_e32 v34, v10, v5
	ds_read_b128 v[2:5], v39 offset:224
	s_waitcnt lgkmcnt(2)
	v_fmac_f32_e32 v54, v12, v6
	v_fma_f32 v6, -v13, v6, v34
	v_fmac_f32_e32 v54, v13, v7
	v_fmac_f32_e32 v6, v12, v7
	ds_read2_b64 v[10:13], v47 offset0:160 offset1:192
	s_waitcnt lgkmcnt(2)
	v_fmac_f32_e32 v54, v55, v8
	v_fma_f32 v34, -v56, v8, v6
	v_fmac_f32_e32 v54, v56, v9
	v_fmac_f32_e32 v34, v55, v9
	ds_read_b128 v[6:9], v39 offset:240
	s_waitcnt lgkmcnt(2)
	v_fmac_f32_e32 v54, v57, v2
	v_fma_f32 v2, -v58, v2, v34
	v_fmac_f32_e32 v54, v58, v3
	v_fmac_f32_e32 v2, v57, v3
	s_waitcnt lgkmcnt(1)
	v_fmac_f32_e32 v54, v10, v4
	v_fma_f32 v2, -v11, v4, v2
	v_fmac_f32_e32 v54, v11, v5
	v_fmac_f32_e32 v2, v10, v5
	;; [unrolled: 5-line block ×3, first 2 shown]
	v_fmac_f32_e32 v54, v59, v8
	v_fma_f32 v10, -v60, v8, v2
	v_fmac_f32_e32 v54, v60, v9
	v_fmac_f32_e32 v10, v59, v9
.LBB7_38:                               ;   in Loop: Header=BB7_16 Depth=3
	s_mov_b32 s49, 0
.LBB7_39:                               ;   in Loop: Header=BB7_16 Depth=3
	s_andn2_b32 vcc_lo, exec_lo, s49
	s_cbranch_vccnz .LBB7_41
; %bb.40:                               ;   in Loop: Header=BB7_16 Depth=3
	s_waitcnt lgkmcnt(1)
	ds_read2_b64 v[2:5], v36 offset1:32
	ds_read_b128 v[6:9], v39
	ds_read_b128 v[10:13], v39 offset:16
	ds_read2_b64 v[55:58], v36 offset0:64 offset1:96
	s_waitcnt lgkmcnt(2)
	v_fma_f32 v54, v2, v6, v53
	v_fma_f32 v6, v3, v6, v52
	v_fmac_f32_e32 v54, v3, v7
	v_fma_f32 v2, v2, -v7, v6
	v_fmac_f32_e32 v54, v4, v8
	v_fmac_f32_e32 v2, v5, v8
	;; [unrolled: 1-line block ×3, first 2 shown]
	v_fma_f32 v34, v4, -v9, v2
	ds_read_b128 v[2:5], v39 offset:32
	ds_read2_b64 v[6:9], v36 offset0:128 offset1:160
	s_waitcnt lgkmcnt(2)
	v_fmac_f32_e32 v54, v55, v10
	v_fmac_f32_e32 v34, v56, v10
	;; [unrolled: 1-line block ×3, first 2 shown]
	v_fma_f32 v10, v55, -v11, v34
	v_fmac_f32_e32 v54, v57, v12
	v_fmac_f32_e32 v10, v58, v12
	;; [unrolled: 1-line block ×3, first 2 shown]
	v_fma_f32 v34, v57, -v13, v10
	ds_read_b128 v[10:13], v39 offset:48
	ds_read2_b64 v[55:58], v36 offset0:192 offset1:224
	s_waitcnt lgkmcnt(2)
	v_fmac_f32_e32 v54, v6, v2
	v_fmac_f32_e32 v34, v7, v2
	v_fmac_f32_e32 v54, v7, v3
	v_fma_f32 v2, v6, -v3, v34
	v_fmac_f32_e32 v54, v8, v4
	v_fmac_f32_e32 v2, v9, v4
	v_fmac_f32_e32 v54, v9, v5
	v_fma_f32 v34, v8, -v5, v2
	ds_read2_b64 v[2:5], v43 offset1:32
	ds_read_b128 v[6:9], v39 offset:64
	s_waitcnt lgkmcnt(2)
	v_fmac_f32_e32 v54, v55, v10
	v_fmac_f32_e32 v34, v56, v10
	v_fmac_f32_e32 v54, v56, v11
	v_fma_f32 v10, v55, -v11, v34
	v_fmac_f32_e32 v54, v57, v12
	v_fmac_f32_e32 v10, v58, v12
	v_fmac_f32_e32 v54, v58, v13
	v_fma_f32 v34, v57, -v13, v10
	ds_read2_b64 v[10:13], v43 offset0:64 offset1:96
	ds_read_b128 v[55:58], v39 offset:80
	s_waitcnt lgkmcnt(2)
	v_fmac_f32_e32 v54, v2, v6
	v_fmac_f32_e32 v34, v3, v6
	v_fmac_f32_e32 v54, v3, v7
	v_fma_f32 v2, v2, -v7, v34
	v_fmac_f32_e32 v54, v4, v8
	v_fmac_f32_e32 v2, v5, v8
	v_fmac_f32_e32 v54, v5, v9
	v_fma_f32 v34, v4, -v9, v2
	ds_read2_b64 v[2:5], v43 offset0:128 offset1:160
	ds_read_b128 v[6:9], v39 offset:96
	s_waitcnt lgkmcnt(2)
	v_fmac_f32_e32 v54, v10, v55
	v_fmac_f32_e32 v34, v11, v55
	v_fmac_f32_e32 v54, v11, v56
	v_fma_f32 v10, v10, -v56, v34
	v_fmac_f32_e32 v54, v12, v57
	v_fmac_f32_e32 v10, v13, v57
	v_fmac_f32_e32 v54, v13, v58
	v_fma_f32 v34, v12, -v58, v10
	ds_read2_b64 v[10:13], v43 offset0:192 offset1:224
	ds_read_b128 v[55:58], v39 offset:112
	s_waitcnt lgkmcnt(2)
	v_fmac_f32_e32 v54, v2, v6
	v_fmac_f32_e32 v34, v3, v6
	v_fmac_f32_e32 v54, v3, v7
	v_fma_f32 v2, v2, -v7, v34
	v_fmac_f32_e32 v54, v4, v8
	v_fmac_f32_e32 v2, v5, v8
	v_fmac_f32_e32 v54, v5, v9
	v_fma_f32 v34, v4, -v9, v2
	ds_read2_b64 v[2:5], v45 offset1:32
	ds_read_b128 v[6:9], v39 offset:128
	s_waitcnt lgkmcnt(2)
	v_fmac_f32_e32 v54, v10, v55
	v_fmac_f32_e32 v34, v11, v55
	v_fmac_f32_e32 v54, v11, v56
	v_fma_f32 v10, v10, -v56, v34
	v_fmac_f32_e32 v54, v12, v57
	v_fmac_f32_e32 v10, v13, v57
	v_fmac_f32_e32 v54, v13, v58
	v_fma_f32 v34, v12, -v58, v10
	ds_read2_b64 v[10:13], v45 offset0:64 offset1:96
	ds_read_b128 v[55:58], v39 offset:144
	s_waitcnt lgkmcnt(2)
	v_fmac_f32_e32 v54, v2, v6
	v_fmac_f32_e32 v34, v3, v6
	v_fmac_f32_e32 v54, v3, v7
	v_fma_f32 v2, v2, -v7, v34
	v_fmac_f32_e32 v54, v4, v8
	v_fmac_f32_e32 v2, v5, v8
	v_fmac_f32_e32 v54, v5, v9
	v_fma_f32 v34, v4, -v9, v2
	ds_read2_b64 v[2:5], v45 offset0:128 offset1:160
	ds_read_b128 v[6:9], v39 offset:160
	s_waitcnt lgkmcnt(2)
	v_fmac_f32_e32 v54, v10, v55
	v_fmac_f32_e32 v34, v11, v55
	v_fmac_f32_e32 v54, v11, v56
	v_fma_f32 v10, v10, -v56, v34
	v_fmac_f32_e32 v54, v12, v57
	v_fmac_f32_e32 v10, v13, v57
	v_fmac_f32_e32 v54, v13, v58
	v_fma_f32 v34, v12, -v58, v10
	ds_read2_b64 v[10:13], v45 offset0:192 offset1:224
	ds_read_b128 v[55:58], v39 offset:176
	;; [unrolled: 44-line block ×3, first 2 shown]
	s_waitcnt lgkmcnt(2)
	v_fmac_f32_e32 v54, v2, v6
	v_fmac_f32_e32 v34, v3, v6
	;; [unrolled: 1-line block ×3, first 2 shown]
	v_fma_f32 v2, v2, -v7, v34
	v_fmac_f32_e32 v54, v4, v8
	v_fmac_f32_e32 v2, v5, v8
	;; [unrolled: 1-line block ×3, first 2 shown]
	v_fma_f32 v2, v4, -v9, v2
	s_waitcnt lgkmcnt(0)
	v_fmac_f32_e32 v54, v10, v55
	v_fmac_f32_e32 v2, v11, v55
	;; [unrolled: 1-line block ×3, first 2 shown]
	v_fma_f32 v2, v10, -v56, v2
	v_fmac_f32_e32 v54, v12, v57
	v_fmac_f32_e32 v2, v13, v57
	;; [unrolled: 1-line block ×3, first 2 shown]
	v_fma_f32 v10, v12, -v58, v2
.LBB7_41:                               ;   in Loop: Header=BB7_16 Depth=3
	s_mov_b32 s49, 0
.LBB7_42:                               ;   in Loop: Header=BB7_16 Depth=3
	s_andn2_b32 vcc_lo, exec_lo, s49
	s_cbranch_vccnz .LBB7_14
; %bb.43:                               ;   in Loop: Header=BB7_16 Depth=3
	s_waitcnt lgkmcnt(1)
	ds_read2_b64 v[2:5], v36 offset1:32
	ds_read_b128 v[6:9], v39
	ds_read_b128 v[10:13], v39 offset:16
	ds_read2_b64 v[54:57], v36 offset0:64 offset1:96
	s_waitcnt lgkmcnt(2)
	v_fmac_f32_e32 v53, v2, v6
	v_fma_f32 v6, -v3, v6, v52
	v_fma_f32 v3, v3, -v7, v53
	v_fma_f32 v2, v2, -v7, v6
	v_fmac_f32_e32 v3, v4, v8
	v_fma_f32 v2, -v5, v8, v2
	v_fma_f32 v34, v5, -v9, v3
	v_fma_f32 v35, v4, -v9, v2
	ds_read_b128 v[2:5], v39 offset:32
	ds_read2_b64 v[6:9], v36 offset0:128 offset1:160
	s_waitcnt lgkmcnt(2)
	v_fmac_f32_e32 v34, v54, v10
	v_fma_f32 v10, -v55, v10, v35
	v_fma_f32 v34, v55, -v11, v34
	v_fma_f32 v10, v54, -v11, v10
	v_fmac_f32_e32 v34, v56, v12
	v_fma_f32 v10, -v57, v12, v10
	v_fma_f32 v34, v57, -v13, v34
	v_fma_f32 v35, v56, -v13, v10
	ds_read_b128 v[10:13], v39 offset:48
	ds_read2_b64 v[52:55], v36 offset0:192 offset1:224
	s_waitcnt lgkmcnt(2)
	v_fmac_f32_e32 v34, v6, v2
	v_fma_f32 v2, -v7, v2, v35
	v_fma_f32 v7, v7, -v3, v34
	v_fma_f32 v2, v6, -v3, v2
	v_fmac_f32_e32 v7, v8, v4
	v_fma_f32 v2, -v9, v4, v2
	v_fma_f32 v34, v9, -v5, v7
	v_fma_f32 v35, v8, -v5, v2
	ds_read2_b64 v[2:5], v43 offset1:32
	ds_read_b128 v[6:9], v39 offset:64
	s_waitcnt lgkmcnt(2)
	v_fmac_f32_e32 v34, v52, v10
	v_fma_f32 v10, -v53, v10, v35
	v_fma_f32 v34, v53, -v11, v34
	v_fma_f32 v10, v52, -v11, v10
	v_fmac_f32_e32 v34, v54, v12
	v_fma_f32 v10, -v55, v12, v10
	v_fma_f32 v34, v55, -v13, v34
	v_fma_f32 v35, v54, -v13, v10
	ds_read2_b64 v[10:13], v43 offset0:64 offset1:96
	ds_read_b128 v[52:55], v39 offset:80
	s_waitcnt lgkmcnt(2)
	v_fmac_f32_e32 v34, v2, v6
	v_fma_f32 v6, -v3, v6, v35
	v_fma_f32 v3, v3, -v7, v34
	v_fma_f32 v2, v2, -v7, v6
	v_fmac_f32_e32 v3, v4, v8
	v_fma_f32 v2, -v5, v8, v2
	v_fma_f32 v34, v5, -v9, v3
	v_fma_f32 v35, v4, -v9, v2
	ds_read2_b64 v[2:5], v43 offset0:128 offset1:160
	ds_read_b128 v[6:9], v39 offset:96
	s_waitcnt lgkmcnt(2)
	v_fmac_f32_e32 v34, v10, v52
	v_fma_f32 v35, -v11, v52, v35
	v_fma_f32 v11, v11, -v53, v34
	v_fma_f32 v10, v10, -v53, v35
	v_fmac_f32_e32 v11, v12, v54
	v_fma_f32 v10, -v13, v54, v10
	v_fma_f32 v34, v13, -v55, v11
	v_fma_f32 v35, v12, -v55, v10
	ds_read2_b64 v[10:13], v43 offset0:192 offset1:224
	ds_read_b128 v[52:55], v39 offset:112
	s_waitcnt lgkmcnt(2)
	v_fmac_f32_e32 v34, v2, v6
	v_fma_f32 v6, -v3, v6, v35
	v_fma_f32 v3, v3, -v7, v34
	v_fma_f32 v2, v2, -v7, v6
	v_fmac_f32_e32 v3, v4, v8
	v_fma_f32 v2, -v5, v8, v2
	v_fma_f32 v34, v5, -v9, v3
	v_fma_f32 v35, v4, -v9, v2
	ds_read2_b64 v[2:5], v45 offset1:32
	ds_read_b128 v[6:9], v39 offset:128
	s_waitcnt lgkmcnt(2)
	v_fmac_f32_e32 v34, v10, v52
	v_fma_f32 v35, -v11, v52, v35
	v_fma_f32 v11, v11, -v53, v34
	v_fma_f32 v10, v10, -v53, v35
	v_fmac_f32_e32 v11, v12, v54
	v_fma_f32 v10, -v13, v54, v10
	v_fma_f32 v34, v13, -v55, v11
	v_fma_f32 v35, v12, -v55, v10
	ds_read2_b64 v[10:13], v45 offset0:64 offset1:96
	ds_read_b128 v[52:55], v39 offset:144
	s_waitcnt lgkmcnt(2)
	v_fmac_f32_e32 v34, v2, v6
	v_fma_f32 v6, -v3, v6, v35
	v_fma_f32 v3, v3, -v7, v34
	v_fma_f32 v2, v2, -v7, v6
	v_fmac_f32_e32 v3, v4, v8
	v_fma_f32 v2, -v5, v8, v2
	v_fma_f32 v34, v5, -v9, v3
	v_fma_f32 v35, v4, -v9, v2
	ds_read2_b64 v[2:5], v45 offset0:128 offset1:160
	ds_read_b128 v[6:9], v39 offset:160
	s_waitcnt lgkmcnt(2)
	v_fmac_f32_e32 v34, v10, v52
	v_fma_f32 v35, -v11, v52, v35
	v_fma_f32 v11, v11, -v53, v34
	v_fma_f32 v10, v10, -v53, v35
	v_fmac_f32_e32 v11, v12, v54
	v_fma_f32 v10, -v13, v54, v10
	v_fma_f32 v34, v13, -v55, v11
	v_fma_f32 v35, v12, -v55, v10
	ds_read2_b64 v[10:13], v45 offset0:192 offset1:224
	ds_read_b128 v[52:55], v39 offset:176
	s_waitcnt lgkmcnt(2)
	v_fmac_f32_e32 v34, v2, v6
	v_fma_f32 v6, -v3, v6, v35
	v_fma_f32 v3, v3, -v7, v34
	v_fma_f32 v2, v2, -v7, v6
	v_fmac_f32_e32 v3, v4, v8
	v_fma_f32 v2, -v5, v8, v2
	v_fma_f32 v34, v5, -v9, v3
	v_fma_f32 v35, v4, -v9, v2
	;; [unrolled: 44-line block ×3, first 2 shown]
	s_waitcnt lgkmcnt(0)
	v_fmac_f32_e32 v3, v10, v52
	v_fma_f32 v2, -v11, v52, v2
	v_fma_f32 v3, v11, -v53, v3
	v_fma_f32 v2, v10, -v53, v2
	v_fmac_f32_e32 v3, v12, v54
	v_fma_f32 v2, -v13, v54, v2
	v_fma_f32 v54, v13, -v55, v3
	v_fma_f32 v10, v12, -v55, v2
	s_branch .LBB7_14
.LBB7_44:                               ;   in Loop: Header=BB7_16 Depth=3
	s_mov_b32 s50, 0
                                        ; implicit-def: $vgpr2_vgpr3
	s_cbranch_execnz .LBB7_28
	s_branch .LBB7_29
.LBB7_45:                               ;   in Loop: Header=BB7_10 Depth=1
	v_add_co_u32 v2, vcc_lo, v26, s4
	v_add_co_ci_u32_e64 v3, null, s5, v27, vcc_lo
	s_and_b32 vcc_lo, exec_lo, s41
	s_mov_b32 s1, -1
                                        ; implicit-def: $vgpr4_vgpr5
	s_cbranch_vccnz .LBB7_48
; %bb.46:                               ;   in Loop: Header=BB7_10 Depth=1
	s_andn2_b32 vcc_lo, exec_lo, s1
	s_cbranch_vccz .LBB7_49
.LBB7_47:                               ;   in Loop: Header=BB7_10 Depth=1
	v_cmp_gt_i64_e32 vcc_lo, s[2:3], v[26:27]
	s_and_b32 s28, s42, vcc_lo
	s_and_saveexec_b32 s1, s28
	s_cbranch_execz .LBB7_9
	s_branch .LBB7_50
.LBB7_48:                               ;   in Loop: Header=BB7_10 Depth=1
	v_mad_u64_u32 v[4:5], null, v2, s22, v[18:19]
	v_mul_lo_u32 v6, v2, s23
	v_mul_lo_u32 v7, v3, s22
	v_add3_u32 v5, v7, v5, v6
	s_cbranch_execnz .LBB7_47
.LBB7_49:                               ;   in Loop: Header=BB7_10 Depth=1
	v_add_co_u32 v4, vcc_lo, v2, v20
	v_add_co_ci_u32_e64 v5, null, v3, v21, vcc_lo
	v_cmp_gt_i64_e32 vcc_lo, s[2:3], v[26:27]
	s_and_b32 s28, s42, vcc_lo
	s_and_saveexec_b32 s1, s28
	s_cbranch_execz .LBB7_9
.LBB7_50:                               ;   in Loop: Header=BB7_10 Depth=1
	v_mul_f32_e64 v2, v52, -v15
	v_mul_f32_e32 v3, v14, v52
	v_lshlrev_b64 v[4:5], 3, v[4:5]
	v_fmac_f32_e32 v2, v14, v53
	v_fmac_f32_e32 v3, v15, v53
	s_and_saveexec_b32 s28, s43
	s_xor_b32 s28, exec_lo, s28
	s_cbranch_execz .LBB7_52
; %bb.51:                               ;   in Loop: Header=BB7_10 Depth=1
	v_add_co_u32 v4, vcc_lo, s20, v4
	v_add_co_ci_u32_e64 v5, null, s21, v5, vcc_lo
	global_load_dwordx2 v[6:7], v[4:5], off
	s_waitcnt vmcnt(0)
	v_fmac_f32_e32 v2, v16, v6
	v_fmac_f32_e32 v3, v17, v6
	v_fma_f32 v2, -v17, v7, v2
	v_fmac_f32_e32 v3, v16, v7
	global_store_dwordx2 v[4:5], v[2:3], off
                                        ; implicit-def: $vgpr4_vgpr5
                                        ; implicit-def: $vgpr2
.LBB7_52:                               ;   in Loop: Header=BB7_10 Depth=1
	s_andn2_saveexec_b32 s28, s28
	s_cbranch_execz .LBB7_9
; %bb.53:                               ;   in Loop: Header=BB7_10 Depth=1
	v_add_co_u32 v4, vcc_lo, s20, v4
	v_add_co_ci_u32_e64 v5, null, s21, v5, vcc_lo
	global_store_dwordx2 v[4:5], v[2:3], off
	s_branch .LBB7_9
.LBB7_54:
	s_endpgm
.LBB7_55:
                                        ; implicit-def: $sgpr26_sgpr27
	s_branch .LBB7_6
	.section	.rodata,"a",@progbits
	.p2align	6, 0x0
	.amdhsa_kernel _ZN9rocsparseL30bellmm_general_blockdim_kernelILi32ELi32E21rocsparse_complex_numIfElS2_S2_S2_EEv20rocsparse_operation_S3_20rocsparse_direction_T2_S5_NS_24const_host_device_scalarIT1_EES5_S5_PKS5_PKT3_PKT4_l16rocsparse_order_S8_PT5_lSH_21rocsparse_index_base_b
		.amdhsa_group_segment_fixed_size 16384
		.amdhsa_private_segment_fixed_size 0
		.amdhsa_kernarg_size 132
		.amdhsa_user_sgpr_count 6
		.amdhsa_user_sgpr_private_segment_buffer 1
		.amdhsa_user_sgpr_dispatch_ptr 0
		.amdhsa_user_sgpr_queue_ptr 0
		.amdhsa_user_sgpr_kernarg_segment_ptr 1
		.amdhsa_user_sgpr_dispatch_id 0
		.amdhsa_user_sgpr_flat_scratch_init 0
		.amdhsa_user_sgpr_private_segment_size 0
		.amdhsa_wavefront_size32 1
		.amdhsa_uses_dynamic_stack 0
		.amdhsa_system_sgpr_private_segment_wavefront_offset 0
		.amdhsa_system_sgpr_workgroup_id_x 1
		.amdhsa_system_sgpr_workgroup_id_y 1
		.amdhsa_system_sgpr_workgroup_id_z 0
		.amdhsa_system_sgpr_workgroup_info 0
		.amdhsa_system_vgpr_workitem_id 1
		.amdhsa_next_free_vgpr 68
		.amdhsa_next_free_sgpr 53
		.amdhsa_reserve_vcc 1
		.amdhsa_reserve_flat_scratch 0
		.amdhsa_float_round_mode_32 0
		.amdhsa_float_round_mode_16_64 0
		.amdhsa_float_denorm_mode_32 3
		.amdhsa_float_denorm_mode_16_64 3
		.amdhsa_dx10_clamp 1
		.amdhsa_ieee_mode 1
		.amdhsa_fp16_overflow 0
		.amdhsa_workgroup_processor_mode 1
		.amdhsa_memory_ordered 1
		.amdhsa_forward_progress 1
		.amdhsa_shared_vgpr_count 0
		.amdhsa_exception_fp_ieee_invalid_op 0
		.amdhsa_exception_fp_denorm_src 0
		.amdhsa_exception_fp_ieee_div_zero 0
		.amdhsa_exception_fp_ieee_overflow 0
		.amdhsa_exception_fp_ieee_underflow 0
		.amdhsa_exception_fp_ieee_inexact 0
		.amdhsa_exception_int_div_zero 0
	.end_amdhsa_kernel
	.section	.text._ZN9rocsparseL30bellmm_general_blockdim_kernelILi32ELi32E21rocsparse_complex_numIfElS2_S2_S2_EEv20rocsparse_operation_S3_20rocsparse_direction_T2_S5_NS_24const_host_device_scalarIT1_EES5_S5_PKS5_PKT3_PKT4_l16rocsparse_order_S8_PT5_lSH_21rocsparse_index_base_b,"axG",@progbits,_ZN9rocsparseL30bellmm_general_blockdim_kernelILi32ELi32E21rocsparse_complex_numIfElS2_S2_S2_EEv20rocsparse_operation_S3_20rocsparse_direction_T2_S5_NS_24const_host_device_scalarIT1_EES5_S5_PKS5_PKT3_PKT4_l16rocsparse_order_S8_PT5_lSH_21rocsparse_index_base_b,comdat
.Lfunc_end7:
	.size	_ZN9rocsparseL30bellmm_general_blockdim_kernelILi32ELi32E21rocsparse_complex_numIfElS2_S2_S2_EEv20rocsparse_operation_S3_20rocsparse_direction_T2_S5_NS_24const_host_device_scalarIT1_EES5_S5_PKS5_PKT3_PKT4_l16rocsparse_order_S8_PT5_lSH_21rocsparse_index_base_b, .Lfunc_end7-_ZN9rocsparseL30bellmm_general_blockdim_kernelILi32ELi32E21rocsparse_complex_numIfElS2_S2_S2_EEv20rocsparse_operation_S3_20rocsparse_direction_T2_S5_NS_24const_host_device_scalarIT1_EES5_S5_PKS5_PKT3_PKT4_l16rocsparse_order_S8_PT5_lSH_21rocsparse_index_base_b
                                        ; -- End function
	.set _ZN9rocsparseL30bellmm_general_blockdim_kernelILi32ELi32E21rocsparse_complex_numIfElS2_S2_S2_EEv20rocsparse_operation_S3_20rocsparse_direction_T2_S5_NS_24const_host_device_scalarIT1_EES5_S5_PKS5_PKT3_PKT4_l16rocsparse_order_S8_PT5_lSH_21rocsparse_index_base_b.num_vgpr, 68
	.set _ZN9rocsparseL30bellmm_general_blockdim_kernelILi32ELi32E21rocsparse_complex_numIfElS2_S2_S2_EEv20rocsparse_operation_S3_20rocsparse_direction_T2_S5_NS_24const_host_device_scalarIT1_EES5_S5_PKS5_PKT3_PKT4_l16rocsparse_order_S8_PT5_lSH_21rocsparse_index_base_b.num_agpr, 0
	.set _ZN9rocsparseL30bellmm_general_blockdim_kernelILi32ELi32E21rocsparse_complex_numIfElS2_S2_S2_EEv20rocsparse_operation_S3_20rocsparse_direction_T2_S5_NS_24const_host_device_scalarIT1_EES5_S5_PKS5_PKT3_PKT4_l16rocsparse_order_S8_PT5_lSH_21rocsparse_index_base_b.numbered_sgpr, 53
	.set _ZN9rocsparseL30bellmm_general_blockdim_kernelILi32ELi32E21rocsparse_complex_numIfElS2_S2_S2_EEv20rocsparse_operation_S3_20rocsparse_direction_T2_S5_NS_24const_host_device_scalarIT1_EES5_S5_PKS5_PKT3_PKT4_l16rocsparse_order_S8_PT5_lSH_21rocsparse_index_base_b.num_named_barrier, 0
	.set _ZN9rocsparseL30bellmm_general_blockdim_kernelILi32ELi32E21rocsparse_complex_numIfElS2_S2_S2_EEv20rocsparse_operation_S3_20rocsparse_direction_T2_S5_NS_24const_host_device_scalarIT1_EES5_S5_PKS5_PKT3_PKT4_l16rocsparse_order_S8_PT5_lSH_21rocsparse_index_base_b.private_seg_size, 0
	.set _ZN9rocsparseL30bellmm_general_blockdim_kernelILi32ELi32E21rocsparse_complex_numIfElS2_S2_S2_EEv20rocsparse_operation_S3_20rocsparse_direction_T2_S5_NS_24const_host_device_scalarIT1_EES5_S5_PKS5_PKT3_PKT4_l16rocsparse_order_S8_PT5_lSH_21rocsparse_index_base_b.uses_vcc, 1
	.set _ZN9rocsparseL30bellmm_general_blockdim_kernelILi32ELi32E21rocsparse_complex_numIfElS2_S2_S2_EEv20rocsparse_operation_S3_20rocsparse_direction_T2_S5_NS_24const_host_device_scalarIT1_EES5_S5_PKS5_PKT3_PKT4_l16rocsparse_order_S8_PT5_lSH_21rocsparse_index_base_b.uses_flat_scratch, 0
	.set _ZN9rocsparseL30bellmm_general_blockdim_kernelILi32ELi32E21rocsparse_complex_numIfElS2_S2_S2_EEv20rocsparse_operation_S3_20rocsparse_direction_T2_S5_NS_24const_host_device_scalarIT1_EES5_S5_PKS5_PKT3_PKT4_l16rocsparse_order_S8_PT5_lSH_21rocsparse_index_base_b.has_dyn_sized_stack, 0
	.set _ZN9rocsparseL30bellmm_general_blockdim_kernelILi32ELi32E21rocsparse_complex_numIfElS2_S2_S2_EEv20rocsparse_operation_S3_20rocsparse_direction_T2_S5_NS_24const_host_device_scalarIT1_EES5_S5_PKS5_PKT3_PKT4_l16rocsparse_order_S8_PT5_lSH_21rocsparse_index_base_b.has_recursion, 0
	.set _ZN9rocsparseL30bellmm_general_blockdim_kernelILi32ELi32E21rocsparse_complex_numIfElS2_S2_S2_EEv20rocsparse_operation_S3_20rocsparse_direction_T2_S5_NS_24const_host_device_scalarIT1_EES5_S5_PKS5_PKT3_PKT4_l16rocsparse_order_S8_PT5_lSH_21rocsparse_index_base_b.has_indirect_call, 0
	.section	.AMDGPU.csdata,"",@progbits
; Kernel info:
; codeLenInByte = 6864
; TotalNumSgprs: 55
; NumVgprs: 68
; ScratchSize: 0
; MemoryBound: 0
; FloatMode: 240
; IeeeMode: 1
; LDSByteSize: 16384 bytes/workgroup (compile time only)
; SGPRBlocks: 0
; VGPRBlocks: 8
; NumSGPRsForWavesPerEU: 55
; NumVGPRsForWavesPerEU: 68
; Occupancy: 12
; WaveLimiterHint : 1
; COMPUTE_PGM_RSRC2:SCRATCH_EN: 0
; COMPUTE_PGM_RSRC2:USER_SGPR: 6
; COMPUTE_PGM_RSRC2:TRAP_HANDLER: 0
; COMPUTE_PGM_RSRC2:TGID_X_EN: 1
; COMPUTE_PGM_RSRC2:TGID_Y_EN: 1
; COMPUTE_PGM_RSRC2:TGID_Z_EN: 0
; COMPUTE_PGM_RSRC2:TIDIG_COMP_CNT: 1
	.section	.text._ZN9rocsparseL30bellmm_general_blockdim_kernelILi32ELi32E21rocsparse_complex_numIdEiS2_S2_S2_EEv20rocsparse_operation_S3_20rocsparse_direction_T2_S5_NS_24const_host_device_scalarIT1_EES5_S5_PKS5_PKT3_PKT4_l16rocsparse_order_S8_PT5_lSH_21rocsparse_index_base_b,"axG",@progbits,_ZN9rocsparseL30bellmm_general_blockdim_kernelILi32ELi32E21rocsparse_complex_numIdEiS2_S2_S2_EEv20rocsparse_operation_S3_20rocsparse_direction_T2_S5_NS_24const_host_device_scalarIT1_EES5_S5_PKS5_PKT3_PKT4_l16rocsparse_order_S8_PT5_lSH_21rocsparse_index_base_b,comdat
	.globl	_ZN9rocsparseL30bellmm_general_blockdim_kernelILi32ELi32E21rocsparse_complex_numIdEiS2_S2_S2_EEv20rocsparse_operation_S3_20rocsparse_direction_T2_S5_NS_24const_host_device_scalarIT1_EES5_S5_PKS5_PKT3_PKT4_l16rocsparse_order_S8_PT5_lSH_21rocsparse_index_base_b ; -- Begin function _ZN9rocsparseL30bellmm_general_blockdim_kernelILi32ELi32E21rocsparse_complex_numIdEiS2_S2_S2_EEv20rocsparse_operation_S3_20rocsparse_direction_T2_S5_NS_24const_host_device_scalarIT1_EES5_S5_PKS5_PKT3_PKT4_l16rocsparse_order_S8_PT5_lSH_21rocsparse_index_base_b
	.p2align	8
	.type	_ZN9rocsparseL30bellmm_general_blockdim_kernelILi32ELi32E21rocsparse_complex_numIdEiS2_S2_S2_EEv20rocsparse_operation_S3_20rocsparse_direction_T2_S5_NS_24const_host_device_scalarIT1_EES5_S5_PKS5_PKT3_PKT4_l16rocsparse_order_S8_PT5_lSH_21rocsparse_index_base_b,@function
_ZN9rocsparseL30bellmm_general_blockdim_kernelILi32ELi32E21rocsparse_complex_numIdEiS2_S2_S2_EEv20rocsparse_operation_S3_20rocsparse_direction_T2_S5_NS_24const_host_device_scalarIT1_EES5_S5_PKS5_PKT3_PKT4_l16rocsparse_order_S8_PT5_lSH_21rocsparse_index_base_b: ; @_ZN9rocsparseL30bellmm_general_blockdim_kernelILi32ELi32E21rocsparse_complex_numIdEiS2_S2_S2_EEv20rocsparse_operation_S3_20rocsparse_direction_T2_S5_NS_24const_host_device_scalarIT1_EES5_S5_PKS5_PKT3_PKT4_l16rocsparse_order_S8_PT5_lSH_21rocsparse_index_base_b
; %bb.0:
	s_clause 0x1
	s_load_dwordx4 s[16:19], s[4:5], 0x78
	s_load_dwordx2 s[0:1], s[4:5], 0x18
	s_add_u32 s8, s4, 24
	s_addc_u32 s9, s5, 0
	s_add_u32 s10, s4, 0x58
	s_addc_u32 s11, s5, 0
	s_load_dwordx2 s[2:3], s[4:5], 0x58
	s_waitcnt lgkmcnt(0)
	s_bitcmp1_b32 s18, 0
	s_cselect_b32 s0, s8, s0
	s_cselect_b32 s1, s9, s1
	v_mov_b32_e32 v2, s0
	v_mov_b32_e32 v3, s1
	s_cselect_b32 s0, s10, s2
	s_cselect_b32 s1, s11, s3
	v_mov_b32_e32 v6, s0
	v_mov_b32_e32 v7, s1
	flat_load_dwordx4 v[2:5], v[2:3]
	flat_load_dwordx4 v[6:9], v[6:7]
	s_waitcnt vmcnt(1) lgkmcnt(1)
	v_cmp_eq_f64_e32 vcc_lo, 0, v[2:3]
	v_cmp_eq_f64_e64 s0, 0, v[4:5]
	s_and_b32 s2, vcc_lo, s0
	s_mov_b32 s0, -1
	s_and_saveexec_b32 s1, s2
	s_cbranch_execz .LBB8_2
; %bb.1:
	s_waitcnt vmcnt(0) lgkmcnt(0)
	v_cmp_neq_f64_e32 vcc_lo, 1.0, v[6:7]
	v_cmp_neq_f64_e64 s0, 0, v[8:9]
	s_or_b32 s0, vcc_lo, s0
	s_orn2_b32 s0, s0, exec_lo
.LBB8_2:
	s_or_b32 exec_lo, exec_lo, s1
	s_and_saveexec_b32 s1, s0
	s_cbranch_execz .LBB8_62
; %bb.3:
	s_clause 0x1
	s_load_dwordx4 s[20:23], s[4:5], 0x0
	s_load_dwordx2 s[2:3], s[4:5], 0x28
	s_mov_b32 s18, 0
	s_waitcnt lgkmcnt(0)
	s_cmp_lt_i32 s6, s23
	s_cselect_b32 s28, -1, 0
	s_cmp_ge_i32 s6, s23
	s_cbranch_scc1 .LBB8_5
; %bb.4:
	s_abs_i32 s0, s3
	s_abs_i32 s9, s2
	v_cvt_f32_u32_e32 v10, s0
	s_sub_i32 s8, 0, s0
	s_xor_b32 s2, s2, s3
	s_ashr_i32 s2, s2, 31
	v_rcp_iflag_f32_e32 v10, v10
	v_mul_f32_e32 v10, 0x4f7ffffe, v10
	v_cvt_u32_f32_e32 v10, v10
	v_readfirstlane_b32 s1, v10
	s_mul_i32 s8, s8, s1
	s_mul_hi_u32 s8, s1, s8
	s_add_i32 s1, s1, s8
	s_mul_hi_u32 s1, s9, s1
	s_mul_i32 s8, s1, s0
	s_sub_i32 s8, s9, s8
	s_add_i32 s9, s1, 1
	s_sub_i32 s10, s8, s0
	s_cmp_ge_u32 s8, s0
	s_cselect_b32 s1, s9, s1
	s_cselect_b32 s8, s10, s8
	s_add_i32 s9, s1, 1
	s_cmp_ge_u32 s8, s0
	s_cselect_b32 s0, s9, s1
	s_xor_b32 s0, s0, s2
	s_sub_i32 s18, s0, s2
.LBB8_5:
	s_cmp_lt_i32 s3, 1
	s_cbranch_scc1 .LBB8_62
; %bb.6:
	s_clause 0x3
	s_load_dwordx8 s[8:15], s[4:5], 0x30
	s_load_dword s0, s[4:5], 0x50
	s_load_dwordx4 s[24:27], s[4:5], 0x68
	s_load_dword s1, s[4:5], 0x10
	v_lshl_add_u32 v14, s7, 5, v1
	s_cmp_gt_i32 s18, 0
	v_lshlrev_b32_e32 v27, 4, v0
	s_cselect_b32 s5, -1, 0
	s_cmpk_eq_i32 s21, 0x6f
	v_ashrrev_i32_e32 v15, 31, v14
	s_cselect_b32 s29, -1, 0
	v_or_b32_e32 v18, 0x4000, v27
	v_lshlrev_b32_e32 v20, 9, v1
	v_mov_b32_e32 v19, 0
	v_lshlrev_b64 v[10:11], 4, v[14:15]
	s_mul_i32 s4, s3, s6
	s_mov_b32 s7, 0
	v_add_nc_u32_e32 v32, 0x4000, v20
	v_add_nc_u32_e32 v33, v18, v20
	;; [unrolled: 1-line block ×3, first 2 shown]
	s_waitcnt lgkmcnt(0)
	v_mul_lo_u32 v16, s14, v15
	s_cmp_lg_u32 s0, 1
	v_mul_lo_u32 v17, s15, v14
	s_cselect_b32 s30, -1, 0
	s_cmp_lg_u32 s22, 0
	v_cmp_gt_i32_e64 s0, s1, v14
	s_cselect_b32 s19, -1, 0
	s_cmpk_eq_i32 s21, 0x71
	v_mad_u64_u32 v[12:13], null, s14, v14, 0
	s_cselect_b32 s2, -1, 0
	s_cmpk_lg_i32 s21, 0x71
	v_add_co_u32 v28, vcc_lo, s12, v10
	s_cselect_b32 s1, -1, 0
	s_cmpk_lg_i32 s20, 0x71
	v_add_co_ci_u32_e64 v29, null, s13, v11, vcc_lo
	s_cselect_b32 s22, -1, 0
	s_waitcnt vmcnt(0)
	v_cmp_neq_f64_e32 vcc_lo, 0, v[6:7]
	s_or_b32 s20, s22, s1
	v_cmp_neq_f64_e64 s1, 0, v[8:9]
	v_add3_u32 v13, v13, v16, v17
	v_mad_u64_u32 v[16:17], null, s26, v14, 0
	s_and_b32 s21, s22, s2
	s_or_b32 s22, s22, s2
	v_lshlrev_b64 v[10:11], 4, v[12:13]
	v_mul_lo_u32 v12, s26, v15
	v_mul_lo_u32 v13, s27, v14
	s_xor_b32 s21, s21, -1
	s_cmp_lg_u32 s16, 1
	v_add_co_u32 v30, s2, s12, v10
	v_add_co_ci_u32_e64 v31, null, s13, v11, s2
	v_add3_u32 v17, v17, v12, v13
	s_cselect_b32 s2, -1, 0
	s_xor_b32 s16, s29, s30
	s_and_b32 s12, s28, s0
	s_xor_b32 s16, s16, -1
	s_or_b32 s13, vcc_lo, s1
	s_branch .LBB8_8
.LBB8_7:                                ;   in Loop: Header=BB8_8 Depth=1
	s_or_b32 exec_lo, exec_lo, s1
	s_add_i32 s7, s7, 32
	s_cmp_lt_i32 s7, s3
	s_cbranch_scc0 .LBB8_62
.LBB8_8:                                ; =>This Loop Header: Depth=1
                                        ;     Child Loop BB8_11 Depth 2
                                        ;       Child Loop BB8_14 Depth 3
                                        ;         Child Loop BB8_39 Depth 4
                                        ;         Child Loop BB8_43 Depth 4
                                        ;         Child Loop BB8_47 Depth 4
                                        ;         Child Loop BB8_51 Depth 4
	v_add_nc_u32_e32 v20, s7, v0
	v_mov_b32_e32 v21, 0
	v_mov_b32_e32 v23, 0
	;; [unrolled: 1-line block ×4, first 2 shown]
	v_cmp_gt_i32_e64 s1, s3, v20
	s_andn2_b32 vcc_lo, exec_lo, s5
	s_cbranch_vccnz .LBB8_53
; %bb.9:                                ;   in Loop: Header=BB8_8 Depth=1
	s_mov_b32 s28, 0
	s_branch .LBB8_11
.LBB8_10:                               ;   in Loop: Header=BB8_11 Depth=2
	s_add_i32 s28, s28, 1
	s_cmp_eq_u32 s28, s18
	s_cbranch_scc1 .LBB8_53
.LBB8_11:                               ;   Parent Loop BB8_8 Depth=1
                                        ; =>  This Loop Header: Depth=2
                                        ;       Child Loop BB8_14 Depth 3
                                        ;         Child Loop BB8_39 Depth 4
                                        ;         Child Loop BB8_43 Depth 4
	;; [unrolled: 1-line block ×4, first 2 shown]
	s_mul_i32 s29, s28, s23
	s_mov_b32 s33, 0
	s_add_i32 s30, s29, s6
	s_ashr_i32 s31, s30, 31
	s_mul_i32 s29, s30, s3
	s_lshl_b64 s[34:35], s[30:31], 2
	v_add_nc_u32_e32 v10, s29, v20
	s_add_u32 s34, s8, s34
	s_addc_u32 s35, s9, s35
	s_load_dword s31, s[34:35], 0x0
	v_mul_lo_u32 v35, v10, s3
	s_waitcnt lgkmcnt(0)
	s_sub_i32 s31, s31, s17
	s_cmp_gt_i32 s31, -1
	s_mul_i32 s31, s31, s3
	s_cselect_b32 s30, -1, 0
	s_branch .LBB8_14
.LBB8_12:                               ;   in Loop: Header=BB8_14 Depth=3
	v_mov_b32_e32 v24, v13
	v_mov_b32_e32 v22, v11
	;; [unrolled: 1-line block ×4, first 2 shown]
.LBB8_13:                               ;   in Loop: Header=BB8_14 Depth=3
	s_add_i32 s33, s33, 32
	s_cmp_ge_i32 s33, s3
	s_barrier
	buffer_gl0_inv
	s_cbranch_scc1 .LBB8_10
.LBB8_14:                               ;   Parent Loop BB8_8 Depth=1
                                        ;     Parent Loop BB8_11 Depth=2
                                        ; =>    This Loop Header: Depth=3
                                        ;         Child Loop BB8_39 Depth 4
                                        ;         Child Loop BB8_43 Depth 4
	;; [unrolled: 1-line block ×4, first 2 shown]
	v_add_nc_u32_e32 v10, s33, v0
	v_cmp_gt_i32_e32 vcc_lo, s3, v10
	s_and_b32 s34, s0, vcc_lo
	s_and_b32 vcc_lo, exec_lo, s16
	s_and_b32 s35, s34, s30
	s_cbranch_vccz .LBB8_18
; %bb.15:                               ;   in Loop: Header=BB8_14 Depth=3
	s_mov_b32 s36, 0
	s_mov_b32 s34, 0
                                        ; implicit-def: $vgpr25_vgpr26
	s_and_saveexec_b32 s37, s35
	s_xor_b32 s37, exec_lo, s37
	s_cbranch_execz .LBB8_17
; %bb.16:                               ;   in Loop: Header=BB8_14 Depth=3
	v_add_nc_u32_e32 v13, s31, v10
	s_mov_b32 s34, exec_lo
	v_mad_u64_u32 v[11:12], null, s14, v13, 0
	v_mad_u64_u32 v[12:13], null, s15, v13, v[12:13]
	v_lshlrev_b64 v[11:12], 4, v[11:12]
	v_add_co_u32 v25, vcc_lo, v28, v11
	v_add_co_ci_u32_e64 v26, null, v29, v12, vcc_lo
.LBB8_17:                               ;   in Loop: Header=BB8_14 Depth=3
	s_or_b32 exec_lo, exec_lo, s37
	s_and_b32 vcc_lo, exec_lo, s36
	s_cbranch_vccnz .LBB8_19
	s_branch .LBB8_22
.LBB8_18:                               ;   in Loop: Header=BB8_14 Depth=3
	s_mov_b32 s34, 0
                                        ; implicit-def: $vgpr25_vgpr26
	s_cbranch_execz .LBB8_22
.LBB8_19:                               ;   in Loop: Header=BB8_14 Depth=3
                                        ; implicit-def: $vgpr25_vgpr26
	s_and_saveexec_b32 s36, s35
; %bb.20:                               ;   in Loop: Header=BB8_14 Depth=3
	v_add_nc_u32_e32 v18, s31, v10
	s_or_b32 s34, s34, exec_lo
	v_lshlrev_b64 v[10:11], 4, v[18:19]
	v_add_co_u32 v25, vcc_lo, v30, v10
	v_add_co_ci_u32_e64 v26, null, v31, v11, vcc_lo
; %bb.21:                               ;   in Loop: Header=BB8_14 Depth=3
	s_or_b32 exec_lo, exec_lo, s36
.LBB8_22:                               ;   in Loop: Header=BB8_14 Depth=3
	v_mov_b32_e32 v10, 0
	v_mov_b32_e32 v12, 0
	;; [unrolled: 1-line block ×4, first 2 shown]
	s_and_saveexec_b32 s35, s34
	s_cbranch_execz .LBB8_24
; %bb.23:                               ;   in Loop: Header=BB8_14 Depth=3
	global_load_dwordx4 v[10:13], v[25:26], off
.LBB8_24:                               ;   in Loop: Header=BB8_14 Depth=3
	s_or_b32 exec_lo, exec_lo, s35
	v_add_nc_u32_e32 v18, s33, v1
	s_waitcnt vmcnt(0)
	ds_write_b128 v33, v[10:13]
	v_cmp_gt_i32_e32 vcc_lo, s3, v18
	s_and_b32 s34, s1, vcc_lo
	s_and_b32 vcc_lo, exec_lo, s19
	s_and_b32 s35, s34, s30
	s_cbranch_vccz .LBB8_28
; %bb.25:                               ;   in Loop: Header=BB8_14 Depth=3
	s_mov_b32 s36, 0
	s_mov_b32 s34, 0
                                        ; implicit-def: $vgpr25
	s_and_saveexec_b32 s37, s35
	s_xor_b32 s37, exec_lo, s37
; %bb.26:                               ;   in Loop: Header=BB8_14 Depth=3
	v_add_nc_u32_e32 v10, s29, v18
	s_mov_b32 s34, exec_lo
	v_mad_u64_u32 v[25:26], null, v10, s3, v[20:21]
; %bb.27:                               ;   in Loop: Header=BB8_14 Depth=3
	s_or_b32 exec_lo, exec_lo, s37
	s_and_b32 vcc_lo, exec_lo, s36
	s_cbranch_vccnz .LBB8_29
	s_branch .LBB8_32
.LBB8_28:                               ;   in Loop: Header=BB8_14 Depth=3
	s_mov_b32 s34, 0
                                        ; implicit-def: $vgpr25
	s_cbranch_execz .LBB8_32
.LBB8_29:                               ;   in Loop: Header=BB8_14 Depth=3
                                        ; implicit-def: $vgpr25
	s_and_saveexec_b32 s36, s35
; %bb.30:                               ;   in Loop: Header=BB8_14 Depth=3
	v_add_nc_u32_e32 v25, v18, v35
	s_or_b32 s34, s34, exec_lo
; %bb.31:                               ;   in Loop: Header=BB8_14 Depth=3
	s_or_b32 exec_lo, exec_lo, s36
.LBB8_32:                               ;   in Loop: Header=BB8_14 Depth=3
	v_mov_b32_e32 v10, 0
	v_mov_b32_e32 v12, 0
	;; [unrolled: 1-line block ×4, first 2 shown]
	s_and_saveexec_b32 s35, s34
	s_cbranch_execz .LBB8_34
; %bb.33:                               ;   in Loop: Header=BB8_14 Depth=3
	v_ashrrev_i32_e32 v26, 31, v25
	v_lshlrev_b64 v[10:11], 4, v[25:26]
	v_add_co_u32 v10, vcc_lo, s10, v10
	v_add_co_ci_u32_e64 v11, null, s11, v11, vcc_lo
	global_load_dwordx4 v[10:13], v[10:11], off
.LBB8_34:                               ;   in Loop: Header=BB8_14 Depth=3
	s_or_b32 exec_lo, exec_lo, s35
	s_andn2_b32 vcc_lo, exec_lo, s30
	s_waitcnt vmcnt(0)
	ds_write_b128 v34, v[10:13]
	s_waitcnt lgkmcnt(0)
	s_barrier
	buffer_gl0_inv
	s_cbranch_vccnz .LBB8_13
; %bb.35:                               ;   in Loop: Header=BB8_14 Depth=3
	s_and_b32 vcc_lo, exec_lo, s20
	s_mov_b32 s34, -1
                                        ; implicit-def: $vgpr10_vgpr11
                                        ; implicit-def: $vgpr12_vgpr13
	s_cbranch_vccz .LBB8_49
; %bb.36:                               ;   in Loop: Header=BB8_14 Depth=3
	s_and_b32 vcc_lo, exec_lo, s21
                                        ; implicit-def: $vgpr10_vgpr11
                                        ; implicit-def: $vgpr12_vgpr13
	s_cbranch_vccz .LBB8_45
; %bb.37:                               ;   in Loop: Header=BB8_14 Depth=3
	s_andn2_b32 vcc_lo, exec_lo, s22
                                        ; implicit-def: $vgpr10_vgpr11
                                        ; implicit-def: $vgpr12_vgpr13
	s_cbranch_vccnz .LBB8_41
; %bb.38:                               ;   in Loop: Header=BB8_14 Depth=3
	v_mov_b32_e32 v10, v21
	v_mov_b32_e32 v12, v23
	;; [unrolled: 1-line block ×5, first 2 shown]
	s_mov_b32 s34, 0
.LBB8_39:                               ;   Parent Loop BB8_8 Depth=1
                                        ;     Parent Loop BB8_11 Depth=2
                                        ;       Parent Loop BB8_14 Depth=3
                                        ; =>      This Inner Loop Header: Depth=4
	v_add_nc_u32_e32 v52, s34, v32
	s_addk_i32 s34, 0x80
	ds_read_b128 v[36:39], v18
	ds_read_b128 v[40:43], v52
	ds_read_b128 v[44:47], v18 offset:512
	ds_read_b128 v[48:51], v52 offset:16
	s_cmpk_lg_i32 s34, 0x200
	s_waitcnt lgkmcnt(2)
	v_fma_f64 v[12:13], v[36:37], v[40:41], v[12:13]
	v_fma_f64 v[10:11], v[38:39], v[40:41], v[10:11]
	v_fma_f64 v[12:13], -v[38:39], v[42:43], v[12:13]
	v_fma_f64 v[10:11], v[36:37], v[42:43], v[10:11]
	s_waitcnt lgkmcnt(0)
	v_fma_f64 v[25:26], v[44:45], v[48:49], v[12:13]
	v_fma_f64 v[36:37], v[46:47], v[48:49], v[10:11]
	ds_read_b128 v[10:13], v18 offset:1024
	v_fma_f64 v[25:26], -v[46:47], v[50:51], v[25:26]
	v_fma_f64 v[48:49], v[44:45], v[50:51], v[36:37]
	ds_read_b128 v[36:39], v52 offset:32
	ds_read_b128 v[40:43], v18 offset:1536
	ds_read_b128 v[44:47], v52 offset:48
	s_waitcnt lgkmcnt(2)
	v_fma_f64 v[25:26], v[10:11], v[36:37], v[25:26]
	v_fma_f64 v[36:37], v[12:13], v[36:37], v[48:49]
	v_fma_f64 v[12:13], -v[12:13], v[38:39], v[25:26]
	v_fma_f64 v[10:11], v[10:11], v[38:39], v[36:37]
	s_waitcnt lgkmcnt(0)
	v_fma_f64 v[25:26], v[40:41], v[44:45], v[12:13]
	v_fma_f64 v[36:37], v[42:43], v[44:45], v[10:11]
	ds_read_b128 v[10:13], v18 offset:2048
	v_fma_f64 v[25:26], -v[42:43], v[46:47], v[25:26]
	v_fma_f64 v[48:49], v[40:41], v[46:47], v[36:37]
	ds_read_b128 v[36:39], v52 offset:64
	ds_read_b128 v[40:43], v18 offset:2560
	ds_read_b128 v[44:47], v52 offset:80
	s_waitcnt lgkmcnt(2)
	v_fma_f64 v[25:26], v[10:11], v[36:37], v[25:26]
	v_fma_f64 v[36:37], v[12:13], v[36:37], v[48:49]
	v_fma_f64 v[12:13], -v[12:13], v[38:39], v[25:26]
	v_fma_f64 v[10:11], v[10:11], v[38:39], v[36:37]
	s_waitcnt lgkmcnt(0)
	v_fma_f64 v[25:26], v[40:41], v[44:45], v[12:13]
	v_fma_f64 v[36:37], v[42:43], v[44:45], v[10:11]
	ds_read_b128 v[10:13], v18 offset:3072
	v_fma_f64 v[25:26], -v[42:43], v[46:47], v[25:26]
	v_fma_f64 v[48:49], v[40:41], v[46:47], v[36:37]
	ds_read_b128 v[36:39], v52 offset:96
	ds_read_b128 v[40:43], v18 offset:3584
	ds_read_b128 v[44:47], v52 offset:112
	v_add_nc_u32_e32 v18, 0x1000, v18
	s_waitcnt lgkmcnt(2)
	v_fma_f64 v[25:26], v[10:11], v[36:37], v[25:26]
	v_fma_f64 v[36:37], v[12:13], v[36:37], v[48:49]
	v_fma_f64 v[12:13], -v[12:13], v[38:39], v[25:26]
	v_fma_f64 v[10:11], v[10:11], v[38:39], v[36:37]
	s_waitcnt lgkmcnt(0)
	v_fma_f64 v[12:13], v[40:41], v[44:45], v[12:13]
	v_fma_f64 v[10:11], v[42:43], v[44:45], v[10:11]
	v_fma_f64 v[12:13], -v[42:43], v[46:47], v[12:13]
	v_fma_f64 v[10:11], v[40:41], v[46:47], v[10:11]
	s_cbranch_scc1 .LBB8_39
; %bb.40:                               ;   in Loop: Header=BB8_14 Depth=3
	s_mov_b32 s34, 0
.LBB8_41:                               ;   in Loop: Header=BB8_14 Depth=3
	s_and_b32 vcc_lo, exec_lo, s34
	s_cbranch_vccz .LBB8_44
; %bb.42:                               ;   in Loop: Header=BB8_14 Depth=3
	v_mov_b32_e32 v10, v21
	v_mov_b32_e32 v12, v23
	;; [unrolled: 1-line block ×5, first 2 shown]
	s_mov_b32 s34, 0
.LBB8_43:                               ;   Parent Loop BB8_8 Depth=1
                                        ;     Parent Loop BB8_11 Depth=2
                                        ;       Parent Loop BB8_14 Depth=3
                                        ; =>      This Inner Loop Header: Depth=4
	v_add_nc_u32_e32 v52, s34, v32
	s_addk_i32 s34, 0x80
	ds_read_b128 v[36:39], v18
	ds_read_b128 v[40:43], v52
	ds_read_b128 v[44:47], v18 offset:512
	ds_read_b128 v[48:51], v52 offset:16
	s_cmpk_eq_i32 s34, 0x200
	s_waitcnt lgkmcnt(2)
	v_fma_f64 v[12:13], v[36:37], v[40:41], v[12:13]
	v_fma_f64 v[10:11], -v[38:39], v[40:41], v[10:11]
	v_fma_f64 v[12:13], v[38:39], v[42:43], v[12:13]
	v_fma_f64 v[10:11], v[36:37], v[42:43], v[10:11]
	s_waitcnt lgkmcnt(0)
	v_fma_f64 v[25:26], v[44:45], v[48:49], v[12:13]
	v_fma_f64 v[36:37], -v[46:47], v[48:49], v[10:11]
	ds_read_b128 v[10:13], v18 offset:1024
	v_fma_f64 v[25:26], v[46:47], v[50:51], v[25:26]
	v_fma_f64 v[48:49], v[44:45], v[50:51], v[36:37]
	ds_read_b128 v[36:39], v52 offset:32
	ds_read_b128 v[40:43], v18 offset:1536
	ds_read_b128 v[44:47], v52 offset:48
	s_waitcnt lgkmcnt(2)
	v_fma_f64 v[25:26], v[10:11], v[36:37], v[25:26]
	v_fma_f64 v[36:37], -v[12:13], v[36:37], v[48:49]
	v_fma_f64 v[12:13], v[12:13], v[38:39], v[25:26]
	v_fma_f64 v[10:11], v[10:11], v[38:39], v[36:37]
	s_waitcnt lgkmcnt(0)
	v_fma_f64 v[25:26], v[40:41], v[44:45], v[12:13]
	v_fma_f64 v[36:37], -v[42:43], v[44:45], v[10:11]
	ds_read_b128 v[10:13], v18 offset:2048
	v_fma_f64 v[25:26], v[42:43], v[46:47], v[25:26]
	v_fma_f64 v[48:49], v[40:41], v[46:47], v[36:37]
	ds_read_b128 v[36:39], v52 offset:64
	ds_read_b128 v[40:43], v18 offset:2560
	ds_read_b128 v[44:47], v52 offset:80
	s_waitcnt lgkmcnt(2)
	v_fma_f64 v[25:26], v[10:11], v[36:37], v[25:26]
	v_fma_f64 v[36:37], -v[12:13], v[36:37], v[48:49]
	v_fma_f64 v[12:13], v[12:13], v[38:39], v[25:26]
	v_fma_f64 v[10:11], v[10:11], v[38:39], v[36:37]
	s_waitcnt lgkmcnt(0)
	v_fma_f64 v[25:26], v[40:41], v[44:45], v[12:13]
	v_fma_f64 v[36:37], -v[42:43], v[44:45], v[10:11]
	ds_read_b128 v[10:13], v18 offset:3072
	v_fma_f64 v[25:26], v[42:43], v[46:47], v[25:26]
	v_fma_f64 v[48:49], v[40:41], v[46:47], v[36:37]
	ds_read_b128 v[36:39], v52 offset:96
	ds_read_b128 v[40:43], v18 offset:3584
	ds_read_b128 v[44:47], v52 offset:112
	v_add_nc_u32_e32 v18, 0x1000, v18
	s_waitcnt lgkmcnt(2)
	v_fma_f64 v[25:26], v[10:11], v[36:37], v[25:26]
	v_fma_f64 v[36:37], -v[12:13], v[36:37], v[48:49]
	v_fma_f64 v[12:13], v[12:13], v[38:39], v[25:26]
	v_fma_f64 v[10:11], v[10:11], v[38:39], v[36:37]
	s_waitcnt lgkmcnt(0)
	v_fma_f64 v[12:13], v[40:41], v[44:45], v[12:13]
	v_fma_f64 v[10:11], -v[42:43], v[44:45], v[10:11]
	v_fma_f64 v[12:13], v[42:43], v[46:47], v[12:13]
	v_fma_f64 v[10:11], v[40:41], v[46:47], v[10:11]
	s_cbranch_scc0 .LBB8_43
.LBB8_44:                               ;   in Loop: Header=BB8_14 Depth=3
	s_mov_b32 s34, 0
.LBB8_45:                               ;   in Loop: Header=BB8_14 Depth=3
	s_andn2_b32 vcc_lo, exec_lo, s34
	s_cbranch_vccnz .LBB8_48
; %bb.46:                               ;   in Loop: Header=BB8_14 Depth=3
	v_mov_b32_e32 v10, v21
	v_mov_b32_e32 v12, v23
	;; [unrolled: 1-line block ×5, first 2 shown]
	s_mov_b32 s34, 0
.LBB8_47:                               ;   Parent Loop BB8_8 Depth=1
                                        ;     Parent Loop BB8_11 Depth=2
                                        ;       Parent Loop BB8_14 Depth=3
                                        ; =>      This Inner Loop Header: Depth=4
	v_add_nc_u32_e32 v52, s34, v32
	s_addk_i32 s34, 0x80
	ds_read_b128 v[36:39], v18
	ds_read_b128 v[40:43], v52
	ds_read_b128 v[44:47], v18 offset:512
	ds_read_b128 v[48:51], v52 offset:16
	s_cmpk_eq_i32 s34, 0x200
	s_waitcnt lgkmcnt(2)
	v_fma_f64 v[12:13], v[36:37], v[40:41], v[12:13]
	v_fma_f64 v[10:11], v[38:39], v[40:41], v[10:11]
	v_fma_f64 v[12:13], v[38:39], v[42:43], v[12:13]
	v_fma_f64 v[10:11], v[36:37], -v[42:43], v[10:11]
	s_waitcnt lgkmcnt(0)
	v_fma_f64 v[25:26], v[44:45], v[48:49], v[12:13]
	v_fma_f64 v[36:37], v[46:47], v[48:49], v[10:11]
	ds_read_b128 v[10:13], v18 offset:1024
	v_fma_f64 v[25:26], v[46:47], v[50:51], v[25:26]
	v_fma_f64 v[48:49], v[44:45], -v[50:51], v[36:37]
	ds_read_b128 v[36:39], v52 offset:32
	ds_read_b128 v[40:43], v18 offset:1536
	ds_read_b128 v[44:47], v52 offset:48
	s_waitcnt lgkmcnt(2)
	v_fma_f64 v[25:26], v[10:11], v[36:37], v[25:26]
	v_fma_f64 v[36:37], v[12:13], v[36:37], v[48:49]
	v_fma_f64 v[12:13], v[12:13], v[38:39], v[25:26]
	v_fma_f64 v[10:11], v[10:11], -v[38:39], v[36:37]
	s_waitcnt lgkmcnt(0)
	v_fma_f64 v[25:26], v[40:41], v[44:45], v[12:13]
	v_fma_f64 v[36:37], v[42:43], v[44:45], v[10:11]
	ds_read_b128 v[10:13], v18 offset:2048
	v_fma_f64 v[25:26], v[42:43], v[46:47], v[25:26]
	v_fma_f64 v[48:49], v[40:41], -v[46:47], v[36:37]
	ds_read_b128 v[36:39], v52 offset:64
	ds_read_b128 v[40:43], v18 offset:2560
	ds_read_b128 v[44:47], v52 offset:80
	;; [unrolled: 14-line block ×3, first 2 shown]
	v_add_nc_u32_e32 v18, 0x1000, v18
	s_waitcnt lgkmcnt(2)
	v_fma_f64 v[25:26], v[10:11], v[36:37], v[25:26]
	v_fma_f64 v[36:37], v[12:13], v[36:37], v[48:49]
	;; [unrolled: 1-line block ×3, first 2 shown]
	v_fma_f64 v[10:11], v[10:11], -v[38:39], v[36:37]
	s_waitcnt lgkmcnt(0)
	v_fma_f64 v[12:13], v[40:41], v[44:45], v[12:13]
	v_fma_f64 v[10:11], v[42:43], v[44:45], v[10:11]
	;; [unrolled: 1-line block ×3, first 2 shown]
	v_fma_f64 v[10:11], v[40:41], -v[46:47], v[10:11]
	s_cbranch_scc0 .LBB8_47
.LBB8_48:                               ;   in Loop: Header=BB8_14 Depth=3
	s_mov_b32 s34, 0
.LBB8_49:                               ;   in Loop: Header=BB8_14 Depth=3
	s_andn2_b32 vcc_lo, exec_lo, s34
	s_cbranch_vccnz .LBB8_12
; %bb.50:                               ;   in Loop: Header=BB8_14 Depth=3
	v_mov_b32_e32 v10, v27
	s_mov_b32 s34, 0
.LBB8_51:                               ;   Parent Loop BB8_8 Depth=1
                                        ;     Parent Loop BB8_11 Depth=2
                                        ;       Parent Loop BB8_14 Depth=3
                                        ; =>      This Inner Loop Header: Depth=4
	v_add_nc_u32_e32 v13, s34, v32
	s_addk_i32 s34, 0x80
	ds_read_b128 v[36:39], v10
	ds_read_b128 v[40:43], v13
	ds_read_b128 v[44:47], v10 offset:512
	ds_read_b128 v[48:51], v13 offset:16
	s_cmpk_eq_i32 s34, 0x200
	s_waitcnt lgkmcnt(2)
	v_fma_f64 v[11:12], v[36:37], v[40:41], v[23:24]
	v_fma_f64 v[21:22], -v[38:39], v[40:41], v[21:22]
	v_fma_f64 v[11:12], v[38:39], -v[42:43], v[11:12]
	v_fma_f64 v[21:22], v[36:37], -v[42:43], v[21:22]
	s_waitcnt lgkmcnt(0)
	v_fma_f64 v[11:12], v[44:45], v[48:49], v[11:12]
	v_fma_f64 v[25:26], -v[46:47], v[48:49], v[21:22]
	ds_read_b128 v[21:24], v10 offset:1024
	v_fma_f64 v[11:12], v[46:47], -v[50:51], v[11:12]
	v_fma_f64 v[25:26], v[44:45], -v[50:51], v[25:26]
	ds_read_b128 v[36:39], v13 offset:32
	ds_read_b128 v[40:43], v10 offset:1536
	ds_read_b128 v[44:47], v13 offset:48
	s_waitcnt lgkmcnt(2)
	v_fma_f64 v[11:12], v[21:22], v[36:37], v[11:12]
	v_fma_f64 v[25:26], -v[23:24], v[36:37], v[25:26]
	v_fma_f64 v[11:12], v[23:24], -v[38:39], v[11:12]
	v_fma_f64 v[21:22], v[21:22], -v[38:39], v[25:26]
	s_waitcnt lgkmcnt(0)
	v_fma_f64 v[11:12], v[40:41], v[44:45], v[11:12]
	v_fma_f64 v[25:26], -v[42:43], v[44:45], v[21:22]
	ds_read_b128 v[21:24], v10 offset:2048
	v_fma_f64 v[11:12], v[42:43], -v[46:47], v[11:12]
	v_fma_f64 v[25:26], v[40:41], -v[46:47], v[25:26]
	ds_read_b128 v[36:39], v13 offset:64
	ds_read_b128 v[40:43], v10 offset:2560
	ds_read_b128 v[44:47], v13 offset:80
	;; [unrolled: 14-line block ×3, first 2 shown]
	v_add_nc_u32_e32 v10, 0x1000, v10
	s_waitcnt lgkmcnt(2)
	v_fma_f64 v[11:12], v[21:22], v[36:37], v[11:12]
	v_fma_f64 v[25:26], -v[23:24], v[36:37], v[25:26]
	v_fma_f64 v[11:12], v[23:24], -v[38:39], v[11:12]
	v_fma_f64 v[21:22], v[21:22], -v[38:39], v[25:26]
	s_waitcnt lgkmcnt(0)
	v_fma_f64 v[11:12], v[40:41], v[44:45], v[11:12]
	v_fma_f64 v[21:22], -v[42:43], v[44:45], v[21:22]
	v_fma_f64 v[23:24], v[42:43], -v[46:47], v[11:12]
	v_fma_f64 v[21:22], v[40:41], -v[46:47], v[21:22]
	s_cbranch_scc0 .LBB8_51
; %bb.52:                               ;   in Loop: Header=BB8_14 Depth=3
	v_mov_b32_e32 v10, v21
	v_mov_b32_e32 v12, v23
	;; [unrolled: 1-line block ×4, first 2 shown]
	s_branch .LBB8_12
.LBB8_53:                               ;   in Loop: Header=BB8_8 Depth=1
	v_add_nc_u32_e32 v12, s4, v20
	s_and_b32 vcc_lo, exec_lo, s2
	s_mov_b32 s1, -1
                                        ; implicit-def: $vgpr10_vgpr11
	v_ashrrev_i32_e32 v13, 31, v12
	s_cbranch_vccnz .LBB8_56
; %bb.54:                               ;   in Loop: Header=BB8_8 Depth=1
	s_andn2_b32 vcc_lo, exec_lo, s1
	s_cbranch_vccz .LBB8_57
.LBB8_55:                               ;   in Loop: Header=BB8_8 Depth=1
	v_cmp_gt_i32_e32 vcc_lo, s3, v20
	s_and_b32 s28, s12, vcc_lo
	s_and_saveexec_b32 s1, s28
	s_cbranch_execz .LBB8_7
	s_branch .LBB8_58
.LBB8_56:                               ;   in Loop: Header=BB8_8 Depth=1
	v_mad_u64_u32 v[10:11], null, s26, v12, v[14:15]
	v_mul_lo_u32 v18, s26, v13
	v_mul_lo_u32 v25, s27, v12
	v_add3_u32 v11, v25, v11, v18
	s_cbranch_execnz .LBB8_55
.LBB8_57:                               ;   in Loop: Header=BB8_8 Depth=1
	v_add_co_u32 v10, vcc_lo, v16, v12
	v_add_co_ci_u32_e64 v11, null, v17, v13, vcc_lo
	v_cmp_gt_i32_e32 vcc_lo, s3, v20
	s_and_b32 s28, s12, vcc_lo
	s_and_saveexec_b32 s1, s28
	s_cbranch_execz .LBB8_7
.LBB8_58:                               ;   in Loop: Header=BB8_8 Depth=1
	s_and_saveexec_b32 s28, s13
	s_xor_b32 s28, exec_lo, s28
	s_cbranch_execz .LBB8_60
; %bb.59:                               ;   in Loop: Header=BB8_8 Depth=1
	v_lshlrev_b64 v[10:11], 4, v[10:11]
	v_mul_f64 v[35:36], v[21:22], -v[4:5]
	v_mul_f64 v[20:21], v[2:3], v[21:22]
	v_add_co_u32 v25, vcc_lo, s24, v10
	v_add_co_ci_u32_e64 v26, null, s25, v11, vcc_lo
	global_load_dwordx4 v[10:13], v[25:26], off
	v_fma_f64 v[35:36], v[2:3], v[23:24], v[35:36]
	v_fma_f64 v[20:21], v[4:5], v[23:24], v[20:21]
	s_waitcnt vmcnt(0)
	v_fma_f64 v[22:23], v[6:7], v[10:11], v[35:36]
	v_fma_f64 v[20:21], v[8:9], v[10:11], v[20:21]
	v_fma_f64 v[10:11], -v[8:9], v[12:13], v[22:23]
	v_fma_f64 v[12:13], v[6:7], v[12:13], v[20:21]
                                        ; implicit-def: $vgpr21_vgpr22
                                        ; implicit-def: $vgpr23_vgpr24
	global_store_dwordx4 v[25:26], v[10:13], off
                                        ; implicit-def: $vgpr10_vgpr11
.LBB8_60:                               ;   in Loop: Header=BB8_8 Depth=1
	s_andn2_saveexec_b32 s28, s28
	s_cbranch_execz .LBB8_7
; %bb.61:                               ;   in Loop: Header=BB8_8 Depth=1
	v_mul_f64 v[12:13], v[21:22], -v[4:5]
	v_mul_f64 v[25:26], v[2:3], v[21:22]
	v_lshlrev_b64 v[10:11], 4, v[10:11]
	v_add_co_u32 v10, vcc_lo, s24, v10
	v_add_co_ci_u32_e64 v11, null, s25, v11, vcc_lo
	v_fma_f64 v[20:21], v[2:3], v[23:24], v[12:13]
	v_fma_f64 v[22:23], v[4:5], v[23:24], v[25:26]
	global_store_dwordx4 v[10:11], v[20:23], off
	s_branch .LBB8_7
.LBB8_62:
	s_endpgm
	.section	.rodata,"a",@progbits
	.p2align	6, 0x0
	.amdhsa_kernel _ZN9rocsparseL30bellmm_general_blockdim_kernelILi32ELi32E21rocsparse_complex_numIdEiS2_S2_S2_EEv20rocsparse_operation_S3_20rocsparse_direction_T2_S5_NS_24const_host_device_scalarIT1_EES5_S5_PKS5_PKT3_PKT4_l16rocsparse_order_S8_PT5_lSH_21rocsparse_index_base_b
		.amdhsa_group_segment_fixed_size 32768
		.amdhsa_private_segment_fixed_size 0
		.amdhsa_kernarg_size 132
		.amdhsa_user_sgpr_count 6
		.amdhsa_user_sgpr_private_segment_buffer 1
		.amdhsa_user_sgpr_dispatch_ptr 0
		.amdhsa_user_sgpr_queue_ptr 0
		.amdhsa_user_sgpr_kernarg_segment_ptr 1
		.amdhsa_user_sgpr_dispatch_id 0
		.amdhsa_user_sgpr_flat_scratch_init 0
		.amdhsa_user_sgpr_private_segment_size 0
		.amdhsa_wavefront_size32 1
		.amdhsa_uses_dynamic_stack 0
		.amdhsa_system_sgpr_private_segment_wavefront_offset 0
		.amdhsa_system_sgpr_workgroup_id_x 1
		.amdhsa_system_sgpr_workgroup_id_y 1
		.amdhsa_system_sgpr_workgroup_id_z 0
		.amdhsa_system_sgpr_workgroup_info 0
		.amdhsa_system_vgpr_workitem_id 1
		.amdhsa_next_free_vgpr 53
		.amdhsa_next_free_sgpr 38
		.amdhsa_reserve_vcc 1
		.amdhsa_reserve_flat_scratch 0
		.amdhsa_float_round_mode_32 0
		.amdhsa_float_round_mode_16_64 0
		.amdhsa_float_denorm_mode_32 3
		.amdhsa_float_denorm_mode_16_64 3
		.amdhsa_dx10_clamp 1
		.amdhsa_ieee_mode 1
		.amdhsa_fp16_overflow 0
		.amdhsa_workgroup_processor_mode 1
		.amdhsa_memory_ordered 1
		.amdhsa_forward_progress 1
		.amdhsa_shared_vgpr_count 0
		.amdhsa_exception_fp_ieee_invalid_op 0
		.amdhsa_exception_fp_denorm_src 0
		.amdhsa_exception_fp_ieee_div_zero 0
		.amdhsa_exception_fp_ieee_overflow 0
		.amdhsa_exception_fp_ieee_underflow 0
		.amdhsa_exception_fp_ieee_inexact 0
		.amdhsa_exception_int_div_zero 0
	.end_amdhsa_kernel
	.section	.text._ZN9rocsparseL30bellmm_general_blockdim_kernelILi32ELi32E21rocsparse_complex_numIdEiS2_S2_S2_EEv20rocsparse_operation_S3_20rocsparse_direction_T2_S5_NS_24const_host_device_scalarIT1_EES5_S5_PKS5_PKT3_PKT4_l16rocsparse_order_S8_PT5_lSH_21rocsparse_index_base_b,"axG",@progbits,_ZN9rocsparseL30bellmm_general_blockdim_kernelILi32ELi32E21rocsparse_complex_numIdEiS2_S2_S2_EEv20rocsparse_operation_S3_20rocsparse_direction_T2_S5_NS_24const_host_device_scalarIT1_EES5_S5_PKS5_PKT3_PKT4_l16rocsparse_order_S8_PT5_lSH_21rocsparse_index_base_b,comdat
.Lfunc_end8:
	.size	_ZN9rocsparseL30bellmm_general_blockdim_kernelILi32ELi32E21rocsparse_complex_numIdEiS2_S2_S2_EEv20rocsparse_operation_S3_20rocsparse_direction_T2_S5_NS_24const_host_device_scalarIT1_EES5_S5_PKS5_PKT3_PKT4_l16rocsparse_order_S8_PT5_lSH_21rocsparse_index_base_b, .Lfunc_end8-_ZN9rocsparseL30bellmm_general_blockdim_kernelILi32ELi32E21rocsparse_complex_numIdEiS2_S2_S2_EEv20rocsparse_operation_S3_20rocsparse_direction_T2_S5_NS_24const_host_device_scalarIT1_EES5_S5_PKS5_PKT3_PKT4_l16rocsparse_order_S8_PT5_lSH_21rocsparse_index_base_b
                                        ; -- End function
	.set _ZN9rocsparseL30bellmm_general_blockdim_kernelILi32ELi32E21rocsparse_complex_numIdEiS2_S2_S2_EEv20rocsparse_operation_S3_20rocsparse_direction_T2_S5_NS_24const_host_device_scalarIT1_EES5_S5_PKS5_PKT3_PKT4_l16rocsparse_order_S8_PT5_lSH_21rocsparse_index_base_b.num_vgpr, 53
	.set _ZN9rocsparseL30bellmm_general_blockdim_kernelILi32ELi32E21rocsparse_complex_numIdEiS2_S2_S2_EEv20rocsparse_operation_S3_20rocsparse_direction_T2_S5_NS_24const_host_device_scalarIT1_EES5_S5_PKS5_PKT3_PKT4_l16rocsparse_order_S8_PT5_lSH_21rocsparse_index_base_b.num_agpr, 0
	.set _ZN9rocsparseL30bellmm_general_blockdim_kernelILi32ELi32E21rocsparse_complex_numIdEiS2_S2_S2_EEv20rocsparse_operation_S3_20rocsparse_direction_T2_S5_NS_24const_host_device_scalarIT1_EES5_S5_PKS5_PKT3_PKT4_l16rocsparse_order_S8_PT5_lSH_21rocsparse_index_base_b.numbered_sgpr, 38
	.set _ZN9rocsparseL30bellmm_general_blockdim_kernelILi32ELi32E21rocsparse_complex_numIdEiS2_S2_S2_EEv20rocsparse_operation_S3_20rocsparse_direction_T2_S5_NS_24const_host_device_scalarIT1_EES5_S5_PKS5_PKT3_PKT4_l16rocsparse_order_S8_PT5_lSH_21rocsparse_index_base_b.num_named_barrier, 0
	.set _ZN9rocsparseL30bellmm_general_blockdim_kernelILi32ELi32E21rocsparse_complex_numIdEiS2_S2_S2_EEv20rocsparse_operation_S3_20rocsparse_direction_T2_S5_NS_24const_host_device_scalarIT1_EES5_S5_PKS5_PKT3_PKT4_l16rocsparse_order_S8_PT5_lSH_21rocsparse_index_base_b.private_seg_size, 0
	.set _ZN9rocsparseL30bellmm_general_blockdim_kernelILi32ELi32E21rocsparse_complex_numIdEiS2_S2_S2_EEv20rocsparse_operation_S3_20rocsparse_direction_T2_S5_NS_24const_host_device_scalarIT1_EES5_S5_PKS5_PKT3_PKT4_l16rocsparse_order_S8_PT5_lSH_21rocsparse_index_base_b.uses_vcc, 1
	.set _ZN9rocsparseL30bellmm_general_blockdim_kernelILi32ELi32E21rocsparse_complex_numIdEiS2_S2_S2_EEv20rocsparse_operation_S3_20rocsparse_direction_T2_S5_NS_24const_host_device_scalarIT1_EES5_S5_PKS5_PKT3_PKT4_l16rocsparse_order_S8_PT5_lSH_21rocsparse_index_base_b.uses_flat_scratch, 0
	.set _ZN9rocsparseL30bellmm_general_blockdim_kernelILi32ELi32E21rocsparse_complex_numIdEiS2_S2_S2_EEv20rocsparse_operation_S3_20rocsparse_direction_T2_S5_NS_24const_host_device_scalarIT1_EES5_S5_PKS5_PKT3_PKT4_l16rocsparse_order_S8_PT5_lSH_21rocsparse_index_base_b.has_dyn_sized_stack, 0
	.set _ZN9rocsparseL30bellmm_general_blockdim_kernelILi32ELi32E21rocsparse_complex_numIdEiS2_S2_S2_EEv20rocsparse_operation_S3_20rocsparse_direction_T2_S5_NS_24const_host_device_scalarIT1_EES5_S5_PKS5_PKT3_PKT4_l16rocsparse_order_S8_PT5_lSH_21rocsparse_index_base_b.has_recursion, 0
	.set _ZN9rocsparseL30bellmm_general_blockdim_kernelILi32ELi32E21rocsparse_complex_numIdEiS2_S2_S2_EEv20rocsparse_operation_S3_20rocsparse_direction_T2_S5_NS_24const_host_device_scalarIT1_EES5_S5_PKS5_PKT3_PKT4_l16rocsparse_order_S8_PT5_lSH_21rocsparse_index_base_b.has_indirect_call, 0
	.section	.AMDGPU.csdata,"",@progbits
; Kernel info:
; codeLenInByte = 3492
; TotalNumSgprs: 40
; NumVgprs: 53
; ScratchSize: 0
; MemoryBound: 1
; FloatMode: 240
; IeeeMode: 1
; LDSByteSize: 32768 bytes/workgroup (compile time only)
; SGPRBlocks: 0
; VGPRBlocks: 6
; NumSGPRsForWavesPerEU: 40
; NumVGPRsForWavesPerEU: 53
; Occupancy: 16
; WaveLimiterHint : 0
; COMPUTE_PGM_RSRC2:SCRATCH_EN: 0
; COMPUTE_PGM_RSRC2:USER_SGPR: 6
; COMPUTE_PGM_RSRC2:TRAP_HANDLER: 0
; COMPUTE_PGM_RSRC2:TGID_X_EN: 1
; COMPUTE_PGM_RSRC2:TGID_Y_EN: 1
; COMPUTE_PGM_RSRC2:TGID_Z_EN: 0
; COMPUTE_PGM_RSRC2:TIDIG_COMP_CNT: 1
	.section	.text._ZN9rocsparseL30bellmm_general_blockdim_kernelILi32ELi32E21rocsparse_complex_numIdElS2_S2_S2_EEv20rocsparse_operation_S3_20rocsparse_direction_T2_S5_NS_24const_host_device_scalarIT1_EES5_S5_PKS5_PKT3_PKT4_l16rocsparse_order_S8_PT5_lSH_21rocsparse_index_base_b,"axG",@progbits,_ZN9rocsparseL30bellmm_general_blockdim_kernelILi32ELi32E21rocsparse_complex_numIdElS2_S2_S2_EEv20rocsparse_operation_S3_20rocsparse_direction_T2_S5_NS_24const_host_device_scalarIT1_EES5_S5_PKS5_PKT3_PKT4_l16rocsparse_order_S8_PT5_lSH_21rocsparse_index_base_b,comdat
	.globl	_ZN9rocsparseL30bellmm_general_blockdim_kernelILi32ELi32E21rocsparse_complex_numIdElS2_S2_S2_EEv20rocsparse_operation_S3_20rocsparse_direction_T2_S5_NS_24const_host_device_scalarIT1_EES5_S5_PKS5_PKT3_PKT4_l16rocsparse_order_S8_PT5_lSH_21rocsparse_index_base_b ; -- Begin function _ZN9rocsparseL30bellmm_general_blockdim_kernelILi32ELi32E21rocsparse_complex_numIdElS2_S2_S2_EEv20rocsparse_operation_S3_20rocsparse_direction_T2_S5_NS_24const_host_device_scalarIT1_EES5_S5_PKS5_PKT3_PKT4_l16rocsparse_order_S8_PT5_lSH_21rocsparse_index_base_b
	.p2align	8
	.type	_ZN9rocsparseL30bellmm_general_blockdim_kernelILi32ELi32E21rocsparse_complex_numIdElS2_S2_S2_EEv20rocsparse_operation_S3_20rocsparse_direction_T2_S5_NS_24const_host_device_scalarIT1_EES5_S5_PKS5_PKT3_PKT4_l16rocsparse_order_S8_PT5_lSH_21rocsparse_index_base_b,@function
_ZN9rocsparseL30bellmm_general_blockdim_kernelILi32ELi32E21rocsparse_complex_numIdElS2_S2_S2_EEv20rocsparse_operation_S3_20rocsparse_direction_T2_S5_NS_24const_host_device_scalarIT1_EES5_S5_PKS5_PKT3_PKT4_l16rocsparse_order_S8_PT5_lSH_21rocsparse_index_base_b: ; @_ZN9rocsparseL30bellmm_general_blockdim_kernelILi32ELi32E21rocsparse_complex_numIdElS2_S2_S2_EEv20rocsparse_operation_S3_20rocsparse_direction_T2_S5_NS_24const_host_device_scalarIT1_EES5_S5_PKS5_PKT3_PKT4_l16rocsparse_order_S8_PT5_lSH_21rocsparse_index_base_b
; %bb.0:
	s_clause 0x1
	s_load_dwordx4 s[28:31], s[4:5], 0x88
	s_load_dwordx2 s[2:3], s[4:5], 0x20
	s_add_u32 s1, s4, 32
	s_mov_b32 s0, s7
	s_addc_u32 s7, s5, 0
	s_add_u32 s10, s4, 0x68
	s_addc_u32 s11, s5, 0
	s_load_dwordx2 s[8:9], s[4:5], 0x68
	s_waitcnt lgkmcnt(0)
	s_bitcmp1_b32 s30, 0
	s_cselect_b32 s1, s1, s2
	s_cselect_b32 s2, s7, s3
	v_mov_b32_e32 v2, s1
	v_mov_b32_e32 v3, s2
	s_cselect_b32 s1, s10, s8
	s_cselect_b32 s2, s11, s9
	v_mov_b32_e32 v6, s1
	flat_load_dwordx4 v[2:5], v[2:3]
	v_mov_b32_e32 v7, s2
	flat_load_dwordx4 v[6:9], v[6:7]
	s_waitcnt vmcnt(1) lgkmcnt(1)
	v_cmp_eq_f64_e32 vcc_lo, 0, v[2:3]
	v_cmp_eq_f64_e64 s1, 0, v[4:5]
	s_and_b32 s3, vcc_lo, s1
	s_mov_b32 s1, -1
	s_and_saveexec_b32 s2, s3
	s_cbranch_execz .LBB9_2
; %bb.1:
	s_waitcnt vmcnt(0) lgkmcnt(0)
	v_cmp_neq_f64_e32 vcc_lo, 1.0, v[6:7]
	v_cmp_neq_f64_e64 s1, 0, v[8:9]
	s_or_b32 s1, vcc_lo, s1
	s_orn2_b32 s1, s1, exec_lo
.LBB9_2:
	s_or_b32 exec_lo, exec_lo, s2
	s_and_saveexec_b32 s2, s1
	s_cbranch_execz .LBB9_65
; %bb.3:
	s_clause 0x1
	s_load_dwordx4 s[16:19], s[4:5], 0x10
	s_load_dwordx4 s[20:23], s[4:5], 0x30
	s_mov_b32 s7, 0
	s_mov_b64 s[30:31], 0
	s_waitcnt lgkmcnt(0)
	v_cmp_le_i64_e64 s1, s[16:17], s[6:7]
	v_cmp_gt_i64_e64 s40, s[16:17], s[6:7]
	s_and_b32 vcc_lo, exec_lo, s1
	s_cbranch_vccnz .LBB9_7
; %bb.4:
	s_or_b64 s[2:3], s[20:21], s[22:23]
	s_mov_b32 s2, s7
	s_cmp_lg_u64 s[2:3], 0
	s_cbranch_scc0 .LBB9_66
; %bb.5:
	s_ashr_i32 s2, s23, 31
	s_add_u32 s8, s22, s2
	s_mov_b32 s3, s2
	s_addc_u32 s9, s23, s2
	s_xor_b64 s[8:9], s[8:9], s[2:3]
	v_cvt_f32_u32_e32 v10, s8
	v_cvt_f32_u32_e32 v11, s9
	s_sub_u32 s10, 0, s8
	s_subb_u32 s11, 0, s9
	v_fmamk_f32 v10, v11, 0x4f800000, v10
	v_rcp_f32_e32 v10, v10
	v_mul_f32_e32 v10, 0x5f7ffffc, v10
	v_mul_f32_e32 v11, 0x2f800000, v10
	v_trunc_f32_e32 v11, v11
	v_fmamk_f32 v10, v11, 0xcf800000, v10
	v_cvt_u32_f32_e32 v11, v11
	v_cvt_u32_f32_e32 v10, v10
	v_readfirstlane_b32 s1, v11
	v_readfirstlane_b32 s7, v10
	s_mul_i32 s12, s10, s1
	s_mul_hi_u32 s14, s10, s7
	s_mul_i32 s13, s11, s7
	s_add_i32 s12, s14, s12
	s_mul_i32 s15, s10, s7
	s_add_i32 s12, s12, s13
	s_mul_hi_u32 s14, s7, s15
	s_mul_i32 s25, s7, s12
	s_mul_hi_u32 s24, s1, s15
	s_mul_i32 s13, s1, s15
	s_mul_hi_u32 s15, s7, s12
	s_add_u32 s14, s14, s25
	s_addc_u32 s15, 0, s15
	s_mul_hi_u32 s26, s1, s12
	s_add_u32 s13, s14, s13
	s_mul_i32 s12, s1, s12
	s_addc_u32 s13, s15, s24
	s_addc_u32 s14, s26, 0
	s_add_u32 s12, s13, s12
	s_addc_u32 s13, 0, s14
	s_add_u32 s7, s7, s12
	s_cselect_b32 s12, -1, 0
	s_mul_hi_u32 s14, s10, s7
	s_cmp_lg_u32 s12, 0
	s_mul_i32 s12, s10, s7
	s_addc_u32 s1, s1, s13
	s_mul_i32 s11, s11, s7
	s_mul_i32 s10, s10, s1
	s_mul_hi_u32 s13, s7, s12
	s_add_i32 s10, s14, s10
	s_mul_hi_u32 s14, s1, s12
	s_add_i32 s10, s10, s11
	s_mul_i32 s11, s1, s12
	s_mul_i32 s24, s7, s10
	s_mul_hi_u32 s15, s7, s10
	s_add_u32 s13, s13, s24
	s_addc_u32 s15, 0, s15
	s_mul_hi_u32 s12, s1, s10
	s_add_u32 s11, s13, s11
	s_mul_i32 s10, s1, s10
	s_addc_u32 s11, s15, s14
	s_addc_u32 s12, s12, 0
	s_add_u32 s10, s11, s10
	s_addc_u32 s11, 0, s12
	s_add_u32 s7, s7, s10
	s_cselect_b32 s10, -1, 0
	s_cmp_lg_u32 s10, 0
	s_addc_u32 s1, s1, s11
	s_ashr_i32 s10, s21, 31
	s_add_u32 s12, s20, s10
	s_mov_b32 s11, s10
	s_addc_u32 s13, s21, s10
	s_xor_b64 s[12:13], s[12:13], s[10:11]
	s_mul_i32 s15, s12, s1
	s_mul_hi_u32 s21, s12, s7
	s_mul_hi_u32 s14, s12, s1
	;; [unrolled: 1-line block ×3, first 2 shown]
	s_mul_i32 s7, s13, s7
	s_add_u32 s15, s21, s15
	s_addc_u32 s14, 0, s14
	s_mul_hi_u32 s24, s13, s1
	s_add_u32 s7, s15, s7
	s_mul_i32 s1, s13, s1
	s_addc_u32 s7, s14, s25
	s_addc_u32 s14, s24, 0
	s_add_u32 s1, s7, s1
	s_addc_u32 s7, 0, s14
	s_mul_hi_u32 s14, s8, s1
	s_mul_i32 s15, s8, s7
	s_mul_i32 s21, s9, s1
	s_add_i32 s14, s14, s15
	s_mul_i32 s15, s8, s1
	s_add_i32 s14, s14, s21
	s_sub_i32 s21, s13, s14
	s_sub_u32 s12, s12, s15
	s_cselect_b32 s15, -1, 0
	s_cmp_lg_u32 s15, 0
	s_subb_u32 s21, s21, s9
	s_sub_u32 s24, s12, s8
	s_cselect_b32 s25, -1, 0
	s_cmp_lg_u32 s25, 0
	s_subb_u32 s21, s21, 0
	s_cmp_ge_u32 s21, s9
	s_cselect_b32 s25, -1, 0
	s_cmp_ge_u32 s24, s8
	s_cselect_b32 s24, -1, 0
	s_cmp_eq_u32 s21, s9
	s_cselect_b32 s21, s24, s25
	s_add_u32 s24, s1, 1
	s_addc_u32 s25, s7, 0
	s_add_u32 s26, s1, 2
	s_addc_u32 s27, s7, 0
	s_cmp_lg_u32 s21, 0
	s_cselect_b32 s21, s26, s24
	s_cselect_b32 s24, s27, s25
	s_cmp_lg_u32 s15, 0
	s_subb_u32 s13, s13, s14
	s_cmp_ge_u32 s13, s9
	s_cselect_b32 s14, -1, 0
	s_cmp_ge_u32 s12, s8
	s_cselect_b32 s8, -1, 0
	s_cmp_eq_u32 s13, s9
	s_cselect_b32 s8, s8, s14
	s_cmp_lg_u32 s8, 0
	s_cselect_b32 s9, s24, s7
	s_cselect_b32 s8, s21, s1
	s_xor_b64 s[2:3], s[10:11], s[2:3]
	s_xor_b64 s[8:9], s[8:9], s[2:3]
	s_sub_u32 s30, s8, s2
	s_subb_u32 s31, s9, s3
	s_cbranch_execnz .LBB9_7
.LBB9_6:
	v_cvt_f32_u32_e32 v10, s22
	s_sub_i32 s2, 0, s22
	s_mov_b32 s31, 0
	v_rcp_iflag_f32_e32 v10, v10
	v_mul_f32_e32 v10, 0x4f7ffffe, v10
	v_cvt_u32_f32_e32 v10, v10
	v_readfirstlane_b32 s1, v10
	s_mul_i32 s2, s2, s1
	s_mul_hi_u32 s2, s1, s2
	s_add_i32 s1, s1, s2
	s_mul_hi_u32 s1, s20, s1
	s_mul_i32 s2, s1, s22
	s_add_i32 s3, s1, 1
	s_sub_i32 s2, s20, s2
	s_sub_i32 s7, s2, s22
	s_cmp_ge_u32 s2, s22
	s_cselect_b32 s1, s3, s1
	s_cselect_b32 s2, s7, s2
	s_add_i32 s3, s1, 1
	s_cmp_ge_u32 s2, s22
	s_cselect_b32 s30, s3, s1
.LBB9_7:
	v_cmp_lt_i64_e64 s1, s[22:23], 1
	s_and_b32 vcc_lo, exec_lo, s1
	s_cbranch_vccnz .LBB9_65
; %bb.8:
	s_clause 0x3
	s_load_dwordx8 s[8:15], s[4:5], 0x40
	s_load_dwordx4 s[36:39], s[4:5], 0x0
	s_load_dwordx4 s[24:27], s[4:5], 0x78
	s_load_dword s1, s[4:5], 0x60
	s_lshl_b32 s0, s0, 5
	s_mul_i32 s3, s22, s23
	v_add_co_u32 v14, s0, s0, v1
	v_add_co_ci_u32_e64 v15, null, 0, 0, s0
	s_mul_hi_u32 s4, s22, s22
	s_mul_i32 s0, s23, s6
	s_mul_hi_u32 s2, s22, s6
	s_add_i32 s4, s4, s3
	s_add_i32 s34, s2, s0
	;; [unrolled: 1-line block ×3, first 2 shown]
	v_lshlrev_b32_e32 v12, 4, v1
	v_lshlrev_b32_e32 v28, 4, v0
	v_cmp_gt_i64_e64 s41, s[30:31], 0
	s_mul_i32 s7, s22, s6
	s_mul_i32 s33, s22, s22
	s_waitcnt lgkmcnt(0)
	s_cmpk_eq_i32 s37, 0x6f
	v_mul_lo_u32 v13, s15, v14
	v_mul_lo_u32 v16, s14, v15
	v_mad_u64_u32 v[10:11], null, s14, v14, 0
	s_cselect_b32 s3, -1, 0
	s_cmp_lg_u32 s1, 1
	v_add_co_u32 v29, s0, s10, v12
	s_cselect_b32 s20, -1, 0
	s_cmp_lg_u32 s38, 0
	v_add3_u32 v11, v11, v16, v13
	s_cselect_b32 s38, -1, 0
	s_cmpk_eq_i32 s37, 0x71
	v_add_co_ci_u32_e64 v30, null, s11, 0, s0
	v_lshlrev_b64 v[10:11], 4, v[10:11]
	v_add_co_u32 v12, s0, s12, v28
	s_cselect_b32 s2, -1, 0
	s_cmpk_lg_i32 s37, 0x71
	v_add_co_ci_u32_e64 v13, null, s13, 0, s0
	s_cselect_b32 s1, -1, 0
	s_cmpk_lg_i32 s36, 0x71
	v_add_co_u32 v31, vcc_lo, v12, v10
	v_cmp_gt_i64_e64 s0, s[18:19], v[14:15]
	s_cselect_b32 s18, -1, 0
	v_add_co_ci_u32_e64 v32, null, v13, v11, vcc_lo
	s_or_b32 s36, s18, s1
	s_waitcnt vmcnt(0)
	v_cmp_neq_f64_e32 vcc_lo, 0, v[6:7]
	v_cmp_neq_f64_e64 s1, 0, v[8:9]
	v_lshlrev_b64 v[10:11], 4, v[14:15]
	v_mul_lo_u32 v18, s27, v14
	v_mul_lo_u32 v19, s26, v15
	v_mad_u64_u32 v[16:17], null, s26, v14, 0
	v_or_b32_e32 v12, 0x4000, v28
	v_lshlrev_b32_e32 v13, 9, v1
	s_and_b32 s19, s18, s2
	s_or_b32 s39, s18, s2
	s_xor_b32 s37, s19, -1
	v_add_co_u32 v33, s2, s12, v10
	s_cmp_lg_u32 s28, 1
	v_add_co_ci_u32_e64 v34, null, s13, v11, s2
	v_add3_u32 v17, v17, v19, v18
	v_add_nc_u32_e32 v35, 0x4000, v13
	v_add_nc_u32_e32 v36, v12, v13
	;; [unrolled: 1-line block ×3, first 2 shown]
	s_cselect_b32 s28, -1, 0
	s_xor_b32 s2, s3, s20
	s_mov_b64 s[4:5], 0
	s_and_b32 s40, s40, s0
	s_or_b32 s42, vcc_lo, s1
	s_xor_b32 s43, s2, -1
	s_branch .LBB9_10
.LBB9_9:                                ;   in Loop: Header=BB9_10 Depth=1
	s_or_b32 exec_lo, exec_lo, s1
	s_add_u32 s4, s4, 32
	s_addc_u32 s5, s5, 0
	v_cmp_lt_i64_e64 s1, s[4:5], s[22:23]
	s_and_b32 vcc_lo, exec_lo, s1
	s_cbranch_vccz .LBB9_65
.LBB9_10:                               ; =>This Loop Header: Depth=1
                                        ;     Child Loop BB9_13 Depth 2
                                        ;       Child Loop BB9_17 Depth 3
                                        ;         Child Loop BB9_42 Depth 4
                                        ;         Child Loop BB9_46 Depth 4
	;; [unrolled: 1-line block ×4, first 2 shown]
	v_add_co_u32 v18, s1, s4, v0
	v_add_co_ci_u32_e64 v19, null, s5, 0, s1
	s_andn2_b32 vcc_lo, exec_lo, s41
	v_cmp_gt_i64_e64 s1, s[22:23], v[18:19]
	s_cbranch_vccnz .LBB9_55
; %bb.11:                               ;   in Loop: Header=BB9_10 Depth=1
	v_mul_lo_u32 v12, v19, s22
	v_mul_lo_u32 v13, v18, s23
	v_mad_u64_u32 v[10:11], null, v18, s22, 0
	v_mov_b32_e32 v20, 0
	v_mov_b32_e32 v22, 0
	;; [unrolled: 1-line block ×4, first 2 shown]
	s_mov_b64 s[2:3], 0
	v_add3_u32 v11, v11, v13, v12
	v_lshlrev_b64 v[12:13], 4, v[18:19]
	v_lshlrev_b64 v[10:11], 4, v[10:11]
	v_add_co_u32 v38, vcc_lo, s10, v12
	v_add_co_ci_u32_e64 v39, null, s11, v13, vcc_lo
	v_add_co_u32 v40, vcc_lo, v29, v10
	v_add_co_ci_u32_e64 v41, null, v30, v11, vcc_lo
	s_branch .LBB9_13
.LBB9_12:                               ;   in Loop: Header=BB9_13 Depth=2
	s_add_u32 s2, s2, 1
	s_addc_u32 s3, s3, 0
	s_cmp_eq_u64 s[2:3], s[30:31]
	s_cbranch_scc1 .LBB9_56
.LBB9_13:                               ;   Parent Loop BB9_10 Depth=1
                                        ; =>  This Loop Header: Depth=2
                                        ;       Child Loop BB9_17 Depth 3
                                        ;         Child Loop BB9_42 Depth 4
                                        ;         Child Loop BB9_46 Depth 4
	;; [unrolled: 1-line block ×4, first 2 shown]
	s_mul_i32 s12, s2, s17
	s_mul_hi_u32 s13, s2, s16
	s_mul_i32 s18, s2, s16
	s_add_i32 s12, s13, s12
	s_mul_i32 s13, s3, s16
	s_add_i32 s13, s12, s13
	s_add_u32 s12, s18, s6
	s_addc_u32 s13, s13, 0
	s_mul_hi_u32 s18, s33, s12
	s_mul_i32 s19, s33, s13
	s_mul_i32 s21, s35, s12
	s_add_i32 s20, s18, s19
	s_lshl_b64 s[18:19], s[12:13], 3
	s_add_i32 s13, s20, s21
	s_add_u32 s18, s8, s18
	s_addc_u32 s19, s9, s19
	s_mul_i32 s12, s33, s12
	s_load_dwordx2 s[18:19], s[18:19], 0x0
	s_waitcnt lgkmcnt(0)
	s_sub_u32 s18, s18, s29
	s_subb_u32 s19, s19, 0
	s_lshl_b64 s[20:21], s[12:13], 4
	s_mul_i32 s13, s18, s23
	s_mul_hi_u32 s44, s18, s22
	s_mul_i32 s45, s19, s22
	s_add_i32 s13, s44, s13
	v_add_co_u32 v42, vcc_lo, v38, s20
	s_mul_i32 s12, s18, s22
	v_add_co_ci_u32_e64 v43, null, s21, v39, vcc_lo
	s_add_i32 s13, s13, s45
	v_add_co_u32 v44, vcc_lo, v40, s20
	v_add_co_ci_u32_e64 v45, null, s21, v41, vcc_lo
	s_lshl_b64 s[20:21], s[12:13], 4
	v_cmp_gt_i64_e64 s44, s[18:19], -1
	v_add_co_u32 v46, vcc_lo, v31, s20
	v_add_co_ci_u32_e64 v47, null, s21, v32, vcc_lo
	s_mov_b64 s[18:19], 0
	s_branch .LBB9_17
.LBB9_14:                               ;   in Loop: Header=BB9_17 Depth=3
	v_mov_b32_e32 v10, v20
	v_mov_b32_e32 v12, v22
	;; [unrolled: 1-line block ×4, first 2 shown]
.LBB9_15:                               ;   in Loop: Header=BB9_17 Depth=3
	v_mov_b32_e32 v23, v13
	v_mov_b32_e32 v21, v11
	;; [unrolled: 1-line block ×4, first 2 shown]
.LBB9_16:                               ;   in Loop: Header=BB9_17 Depth=3
	s_add_u32 s18, s18, 32
	s_addc_u32 s19, s19, 0
	v_cmp_ge_i64_e64 s20, s[18:19], s[22:23]
	s_barrier
	buffer_gl0_inv
	s_and_b32 vcc_lo, exec_lo, s20
	s_cbranch_vccnz .LBB9_12
.LBB9_17:                               ;   Parent Loop BB9_10 Depth=1
                                        ;     Parent Loop BB9_13 Depth=2
                                        ; =>    This Loop Header: Depth=3
                                        ;         Child Loop BB9_42 Depth 4
                                        ;         Child Loop BB9_46 Depth 4
	;; [unrolled: 1-line block ×4, first 2 shown]
	v_add_co_u32 v10, s20, s18, v0
	v_add_co_ci_u32_e64 v11, null, s19, 0, s20
	v_cmp_gt_i64_e32 vcc_lo, s[22:23], v[10:11]
	s_and_b32 s20, s0, vcc_lo
	s_and_b32 vcc_lo, exec_lo, s43
	s_and_b32 s21, s20, s44
	s_cbranch_vccz .LBB9_21
; %bb.18:                               ;   in Loop: Header=BB9_17 Depth=3
	s_mov_b32 s45, 0
	s_mov_b32 s20, 0
                                        ; implicit-def: $vgpr24_vgpr25
	s_and_saveexec_b32 s46, s21
	s_xor_b32 s46, exec_lo, s46
	s_cbranch_execz .LBB9_20
; %bb.19:                               ;   in Loop: Header=BB9_17 Depth=3
	v_add_co_u32 v10, vcc_lo, v10, s12
	v_add_co_ci_u32_e64 v11, null, s13, v11, vcc_lo
	s_mov_b32 s20, exec_lo
	v_mul_lo_u32 v13, v10, s15
	v_mul_lo_u32 v12, v11, s14
	v_mad_u64_u32 v[10:11], null, v10, s14, 0
	v_add3_u32 v11, v11, v13, v12
	v_lshlrev_b64 v[10:11], 4, v[10:11]
	v_add_co_u32 v24, vcc_lo, v33, v10
	v_add_co_ci_u32_e64 v25, null, v34, v11, vcc_lo
.LBB9_20:                               ;   in Loop: Header=BB9_17 Depth=3
	s_or_b32 exec_lo, exec_lo, s46
	s_and_b32 vcc_lo, exec_lo, s45
	s_cbranch_vccnz .LBB9_22
	s_branch .LBB9_25
.LBB9_21:                               ;   in Loop: Header=BB9_17 Depth=3
	s_mov_b32 s20, 0
                                        ; implicit-def: $vgpr24_vgpr25
	s_cbranch_execz .LBB9_25
.LBB9_22:                               ;   in Loop: Header=BB9_17 Depth=3
                                        ; implicit-def: $vgpr24_vgpr25
	s_and_saveexec_b32 s45, s21
; %bb.23:                               ;   in Loop: Header=BB9_17 Depth=3
	s_lshl_b64 s[46:47], s[18:19], 4
	s_or_b32 s20, s20, exec_lo
	v_add_co_u32 v24, vcc_lo, v46, s46
	v_add_co_ci_u32_e64 v25, null, s47, v47, vcc_lo
; %bb.24:                               ;   in Loop: Header=BB9_17 Depth=3
	s_or_b32 exec_lo, exec_lo, s45
.LBB9_25:                               ;   in Loop: Header=BB9_17 Depth=3
	v_mov_b32_e32 v10, 0
	v_mov_b32_e32 v12, 0
	;; [unrolled: 1-line block ×4, first 2 shown]
	s_and_saveexec_b32 s21, s20
	s_cbranch_execz .LBB9_27
; %bb.26:                               ;   in Loop: Header=BB9_17 Depth=3
	global_load_dwordx4 v[10:13], v[24:25], off
.LBB9_27:                               ;   in Loop: Header=BB9_17 Depth=3
	s_or_b32 exec_lo, exec_lo, s21
	v_add_co_u32 v26, s20, s18, v1
	v_add_co_ci_u32_e64 v27, null, s19, 0, s20
	s_waitcnt vmcnt(0)
	ds_write_b128 v36, v[10:13]
	v_cmp_gt_i64_e32 vcc_lo, s[22:23], v[26:27]
	s_and_b32 s20, s1, vcc_lo
	s_and_b32 vcc_lo, exec_lo, s38
	s_and_b32 s21, s20, s44
	s_cbranch_vccz .LBB9_31
; %bb.28:                               ;   in Loop: Header=BB9_17 Depth=3
	s_mov_b32 s45, 0
	s_mov_b32 s20, 0
                                        ; implicit-def: $vgpr24_vgpr25
	s_and_saveexec_b32 s46, s21
	s_xor_b32 s46, exec_lo, s46
	s_cbranch_execz .LBB9_30
; %bb.29:                               ;   in Loop: Header=BB9_17 Depth=3
	v_mul_lo_u32 v12, v27, s22
	v_mul_lo_u32 v13, v26, s23
	v_mad_u64_u32 v[10:11], null, v26, s22, 0
	s_mov_b32 s20, exec_lo
	v_add3_u32 v11, v11, v13, v12
	v_lshlrev_b64 v[10:11], 4, v[10:11]
	v_add_co_u32 v24, vcc_lo, v42, v10
	v_add_co_ci_u32_e64 v25, null, v43, v11, vcc_lo
.LBB9_30:                               ;   in Loop: Header=BB9_17 Depth=3
	s_or_b32 exec_lo, exec_lo, s46
	s_and_b32 vcc_lo, exec_lo, s45
	s_cbranch_vccnz .LBB9_32
	s_branch .LBB9_35
.LBB9_31:                               ;   in Loop: Header=BB9_17 Depth=3
	s_mov_b32 s20, 0
                                        ; implicit-def: $vgpr24_vgpr25
	s_cbranch_execz .LBB9_35
.LBB9_32:                               ;   in Loop: Header=BB9_17 Depth=3
                                        ; implicit-def: $vgpr24_vgpr25
	s_and_saveexec_b32 s45, s21
; %bb.33:                               ;   in Loop: Header=BB9_17 Depth=3
	s_lshl_b64 s[46:47], s[18:19], 4
	s_or_b32 s20, s20, exec_lo
	v_add_co_u32 v24, vcc_lo, v44, s46
	v_add_co_ci_u32_e64 v25, null, s47, v45, vcc_lo
; %bb.34:                               ;   in Loop: Header=BB9_17 Depth=3
	s_or_b32 exec_lo, exec_lo, s45
.LBB9_35:                               ;   in Loop: Header=BB9_17 Depth=3
	v_mov_b32_e32 v10, 0
	v_mov_b32_e32 v12, 0
	;; [unrolled: 1-line block ×4, first 2 shown]
	s_and_saveexec_b32 s21, s20
	s_cbranch_execz .LBB9_37
; %bb.36:                               ;   in Loop: Header=BB9_17 Depth=3
	global_load_dwordx4 v[10:13], v[24:25], off
.LBB9_37:                               ;   in Loop: Header=BB9_17 Depth=3
	s_or_b32 exec_lo, exec_lo, s21
	s_andn2_b32 vcc_lo, exec_lo, s44
	s_waitcnt vmcnt(0)
	ds_write_b128 v37, v[10:13]
	s_waitcnt lgkmcnt(0)
	s_barrier
	buffer_gl0_inv
	s_cbranch_vccnz .LBB9_16
; %bb.38:                               ;   in Loop: Header=BB9_17 Depth=3
	s_and_b32 vcc_lo, exec_lo, s36
	s_mov_b32 s20, -1
                                        ; implicit-def: $vgpr10_vgpr11
                                        ; implicit-def: $vgpr12_vgpr13
	s_cbranch_vccz .LBB9_52
; %bb.39:                               ;   in Loop: Header=BB9_17 Depth=3
	s_and_b32 vcc_lo, exec_lo, s37
                                        ; implicit-def: $vgpr10_vgpr11
                                        ; implicit-def: $vgpr12_vgpr13
	s_cbranch_vccz .LBB9_48
; %bb.40:                               ;   in Loop: Header=BB9_17 Depth=3
	s_andn2_b32 vcc_lo, exec_lo, s39
                                        ; implicit-def: $vgpr10_vgpr11
                                        ; implicit-def: $vgpr12_vgpr13
	s_cbranch_vccnz .LBB9_44
; %bb.41:                               ;   in Loop: Header=BB9_17 Depth=3
	v_mov_b32_e32 v10, v20
	v_mov_b32_e32 v12, v22
	;; [unrolled: 1-line block ×6, first 2 shown]
	s_mov_b64 s[20:21], 32
.LBB9_42:                               ;   Parent Loop BB9_10 Depth=1
                                        ;     Parent Loop BB9_13 Depth=2
                                        ;       Parent Loop BB9_17 Depth=3
                                        ; =>      This Inner Loop Header: Depth=4
	ds_read_b128 v[48:51], v25
	ds_read_b128 v[52:55], v24
	ds_read_b128 v[56:59], v24 offset:16
	ds_read_b128 v[60:63], v25 offset:512
	s_add_u32 s20, s20, -8
	s_addc_u32 s21, s21, -1
	s_cmp_lg_u64 s[20:21], 0
	s_waitcnt lgkmcnt(2)
	v_fma_f64 v[12:13], v[48:49], v[52:53], v[12:13]
	v_fma_f64 v[10:11], v[50:51], v[52:53], v[10:11]
	v_fma_f64 v[12:13], -v[50:51], v[54:55], v[12:13]
	v_fma_f64 v[10:11], v[48:49], v[54:55], v[10:11]
	s_waitcnt lgkmcnt(0)
	v_fma_f64 v[26:27], v[60:61], v[56:57], v[12:13]
	v_fma_f64 v[48:49], v[62:63], v[56:57], v[10:11]
	ds_read_b128 v[10:13], v25 offset:1024
	v_fma_f64 v[26:27], -v[62:63], v[58:59], v[26:27]
	v_fma_f64 v[60:61], v[60:61], v[58:59], v[48:49]
	ds_read_b128 v[48:51], v24 offset:32
	ds_read_b128 v[52:55], v24 offset:48
	ds_read_b128 v[56:59], v25 offset:1536
	s_waitcnt lgkmcnt(2)
	v_fma_f64 v[26:27], v[10:11], v[48:49], v[26:27]
	v_fma_f64 v[48:49], v[12:13], v[48:49], v[60:61]
	v_fma_f64 v[12:13], -v[12:13], v[50:51], v[26:27]
	v_fma_f64 v[10:11], v[10:11], v[50:51], v[48:49]
	s_waitcnt lgkmcnt(0)
	v_fma_f64 v[26:27], v[56:57], v[52:53], v[12:13]
	v_fma_f64 v[48:49], v[58:59], v[52:53], v[10:11]
	ds_read_b128 v[10:13], v24 offset:64
	v_fma_f64 v[26:27], -v[58:59], v[54:55], v[26:27]
	v_fma_f64 v[60:61], v[56:57], v[54:55], v[48:49]
	ds_read_b128 v[48:51], v25 offset:2048
	ds_read_b128 v[52:55], v25 offset:2560
	ds_read_b128 v[56:59], v24 offset:80
	;; [unrolled: 14-line block ×3, first 2 shown]
	v_add_nc_u32_e32 v25, 0x1000, v25
	v_add_nc_u32_e32 v24, 0x80, v24
	s_waitcnt lgkmcnt(2)
	v_fma_f64 v[26:27], v[48:49], v[10:11], v[26:27]
	v_fma_f64 v[10:11], v[50:51], v[10:11], v[60:61]
	v_fma_f64 v[26:27], -v[50:51], v[12:13], v[26:27]
	v_fma_f64 v[10:11], v[48:49], v[12:13], v[10:11]
	s_waitcnt lgkmcnt(0)
	v_fma_f64 v[12:13], v[52:53], v[56:57], v[26:27]
	v_fma_f64 v[10:11], v[54:55], v[56:57], v[10:11]
	v_fma_f64 v[12:13], -v[54:55], v[58:59], v[12:13]
	v_fma_f64 v[10:11], v[52:53], v[58:59], v[10:11]
	s_cbranch_scc1 .LBB9_42
; %bb.43:                               ;   in Loop: Header=BB9_17 Depth=3
	s_mov_b32 s20, 0
.LBB9_44:                               ;   in Loop: Header=BB9_17 Depth=3
	s_and_b32 vcc_lo, exec_lo, s20
	s_cbranch_vccz .LBB9_47
; %bb.45:                               ;   in Loop: Header=BB9_17 Depth=3
	v_mov_b32_e32 v10, v20
	v_mov_b32_e32 v12, v22
	;; [unrolled: 1-line block ×6, first 2 shown]
	s_mov_b64 s[20:21], 32
.LBB9_46:                               ;   Parent Loop BB9_10 Depth=1
                                        ;     Parent Loop BB9_13 Depth=2
                                        ;       Parent Loop BB9_17 Depth=3
                                        ; =>      This Inner Loop Header: Depth=4
	ds_read_b128 v[48:51], v25
	ds_read_b128 v[52:55], v24
	ds_read_b128 v[56:59], v24 offset:16
	ds_read_b128 v[60:63], v25 offset:512
	s_add_u32 s20, s20, -8
	s_addc_u32 s21, s21, -1
	s_cmp_eq_u64 s[20:21], 0
	s_waitcnt lgkmcnt(2)
	v_fma_f64 v[12:13], v[48:49], v[52:53], v[12:13]
	v_fma_f64 v[10:11], -v[50:51], v[52:53], v[10:11]
	v_fma_f64 v[12:13], v[50:51], v[54:55], v[12:13]
	v_fma_f64 v[10:11], v[48:49], v[54:55], v[10:11]
	s_waitcnt lgkmcnt(0)
	v_fma_f64 v[26:27], v[60:61], v[56:57], v[12:13]
	v_fma_f64 v[48:49], -v[62:63], v[56:57], v[10:11]
	ds_read_b128 v[10:13], v25 offset:1024
	v_fma_f64 v[26:27], v[62:63], v[58:59], v[26:27]
	v_fma_f64 v[60:61], v[60:61], v[58:59], v[48:49]
	ds_read_b128 v[48:51], v24 offset:32
	ds_read_b128 v[52:55], v24 offset:48
	ds_read_b128 v[56:59], v25 offset:1536
	s_waitcnt lgkmcnt(2)
	v_fma_f64 v[26:27], v[10:11], v[48:49], v[26:27]
	v_fma_f64 v[48:49], -v[12:13], v[48:49], v[60:61]
	v_fma_f64 v[12:13], v[12:13], v[50:51], v[26:27]
	v_fma_f64 v[10:11], v[10:11], v[50:51], v[48:49]
	s_waitcnt lgkmcnt(0)
	v_fma_f64 v[26:27], v[56:57], v[52:53], v[12:13]
	v_fma_f64 v[48:49], -v[58:59], v[52:53], v[10:11]
	ds_read_b128 v[10:13], v24 offset:64
	v_fma_f64 v[26:27], v[58:59], v[54:55], v[26:27]
	v_fma_f64 v[60:61], v[56:57], v[54:55], v[48:49]
	ds_read_b128 v[48:51], v25 offset:2048
	ds_read_b128 v[52:55], v25 offset:2560
	ds_read_b128 v[56:59], v24 offset:80
	;; [unrolled: 14-line block ×3, first 2 shown]
	v_add_nc_u32_e32 v25, 0x1000, v25
	v_add_nc_u32_e32 v24, 0x80, v24
	s_waitcnt lgkmcnt(2)
	v_fma_f64 v[26:27], v[48:49], v[10:11], v[26:27]
	v_fma_f64 v[10:11], -v[50:51], v[10:11], v[60:61]
	v_fma_f64 v[26:27], v[50:51], v[12:13], v[26:27]
	v_fma_f64 v[10:11], v[48:49], v[12:13], v[10:11]
	s_waitcnt lgkmcnt(0)
	v_fma_f64 v[12:13], v[52:53], v[56:57], v[26:27]
	v_fma_f64 v[10:11], -v[54:55], v[56:57], v[10:11]
	v_fma_f64 v[12:13], v[54:55], v[58:59], v[12:13]
	v_fma_f64 v[10:11], v[52:53], v[58:59], v[10:11]
	s_cbranch_scc0 .LBB9_46
.LBB9_47:                               ;   in Loop: Header=BB9_17 Depth=3
	s_mov_b32 s20, 0
.LBB9_48:                               ;   in Loop: Header=BB9_17 Depth=3
	s_andn2_b32 vcc_lo, exec_lo, s20
	s_cbranch_vccnz .LBB9_51
; %bb.49:                               ;   in Loop: Header=BB9_17 Depth=3
	v_mov_b32_e32 v10, v20
	v_mov_b32_e32 v12, v22
	;; [unrolled: 1-line block ×6, first 2 shown]
	s_mov_b64 s[20:21], 32
.LBB9_50:                               ;   Parent Loop BB9_10 Depth=1
                                        ;     Parent Loop BB9_13 Depth=2
                                        ;       Parent Loop BB9_17 Depth=3
                                        ; =>      This Inner Loop Header: Depth=4
	ds_read_b128 v[48:51], v25
	ds_read_b128 v[52:55], v24
	ds_read_b128 v[56:59], v24 offset:16
	ds_read_b128 v[60:63], v25 offset:512
	s_add_u32 s20, s20, -8
	s_addc_u32 s21, s21, -1
	s_cmp_eq_u64 s[20:21], 0
	s_waitcnt lgkmcnt(2)
	v_fma_f64 v[12:13], v[48:49], v[52:53], v[12:13]
	v_fma_f64 v[10:11], v[50:51], v[52:53], v[10:11]
	v_fma_f64 v[12:13], v[50:51], v[54:55], v[12:13]
	v_fma_f64 v[10:11], v[48:49], -v[54:55], v[10:11]
	s_waitcnt lgkmcnt(0)
	v_fma_f64 v[26:27], v[60:61], v[56:57], v[12:13]
	v_fma_f64 v[48:49], v[62:63], v[56:57], v[10:11]
	ds_read_b128 v[10:13], v25 offset:1024
	v_fma_f64 v[26:27], v[62:63], v[58:59], v[26:27]
	v_fma_f64 v[60:61], v[60:61], -v[58:59], v[48:49]
	ds_read_b128 v[48:51], v24 offset:32
	ds_read_b128 v[52:55], v24 offset:48
	ds_read_b128 v[56:59], v25 offset:1536
	s_waitcnt lgkmcnt(2)
	v_fma_f64 v[26:27], v[10:11], v[48:49], v[26:27]
	v_fma_f64 v[48:49], v[12:13], v[48:49], v[60:61]
	v_fma_f64 v[12:13], v[12:13], v[50:51], v[26:27]
	v_fma_f64 v[10:11], v[10:11], -v[50:51], v[48:49]
	s_waitcnt lgkmcnt(0)
	v_fma_f64 v[26:27], v[56:57], v[52:53], v[12:13]
	v_fma_f64 v[48:49], v[58:59], v[52:53], v[10:11]
	ds_read_b128 v[10:13], v24 offset:64
	v_fma_f64 v[26:27], v[58:59], v[54:55], v[26:27]
	v_fma_f64 v[60:61], v[56:57], -v[54:55], v[48:49]
	ds_read_b128 v[48:51], v25 offset:2048
	ds_read_b128 v[52:55], v25 offset:2560
	ds_read_b128 v[56:59], v24 offset:80
	;; [unrolled: 14-line block ×3, first 2 shown]
	v_add_nc_u32_e32 v25, 0x1000, v25
	v_add_nc_u32_e32 v24, 0x80, v24
	s_waitcnt lgkmcnt(2)
	v_fma_f64 v[26:27], v[48:49], v[10:11], v[26:27]
	v_fma_f64 v[10:11], v[50:51], v[10:11], v[60:61]
	;; [unrolled: 1-line block ×3, first 2 shown]
	v_fma_f64 v[10:11], v[48:49], -v[12:13], v[10:11]
	s_waitcnt lgkmcnt(0)
	v_fma_f64 v[12:13], v[52:53], v[56:57], v[26:27]
	v_fma_f64 v[10:11], v[54:55], v[56:57], v[10:11]
	;; [unrolled: 1-line block ×3, first 2 shown]
	v_fma_f64 v[10:11], v[52:53], -v[58:59], v[10:11]
	s_cbranch_scc0 .LBB9_50
.LBB9_51:                               ;   in Loop: Header=BB9_17 Depth=3
	s_mov_b32 s20, 0
.LBB9_52:                               ;   in Loop: Header=BB9_17 Depth=3
	s_andn2_b32 vcc_lo, exec_lo, s20
	s_cbranch_vccnz .LBB9_15
; %bb.53:                               ;   in Loop: Header=BB9_17 Depth=3
	v_mov_b32_e32 v10, v35
	v_mov_b32_e32 v11, v28
	s_mov_b64 s[20:21], 32
.LBB9_54:                               ;   Parent Loop BB9_10 Depth=1
                                        ;     Parent Loop BB9_13 Depth=2
                                        ;       Parent Loop BB9_17 Depth=3
                                        ; =>      This Inner Loop Header: Depth=4
	ds_read_b128 v[24:27], v11
	ds_read_b128 v[48:51], v10
	ds_read_b128 v[52:55], v10 offset:16
	ds_read_b128 v[56:59], v11 offset:512
	s_add_u32 s20, s20, -8
	s_addc_u32 s21, s21, -1
	s_cmp_eq_u64 s[20:21], 0
	s_waitcnt lgkmcnt(2)
	v_fma_f64 v[12:13], v[24:25], v[48:49], v[22:23]
	v_fma_f64 v[20:21], -v[26:27], v[48:49], v[20:21]
	v_fma_f64 v[12:13], v[26:27], -v[50:51], v[12:13]
	v_fma_f64 v[20:21], v[24:25], -v[50:51], v[20:21]
	s_waitcnt lgkmcnt(0)
	v_fma_f64 v[12:13], v[56:57], v[52:53], v[12:13]
	v_fma_f64 v[24:25], -v[58:59], v[52:53], v[20:21]
	ds_read_b128 v[20:23], v11 offset:1024
	v_fma_f64 v[12:13], v[58:59], -v[54:55], v[12:13]
	v_fma_f64 v[56:57], v[56:57], -v[54:55], v[24:25]
	ds_read_b128 v[24:27], v10 offset:32
	ds_read_b128 v[48:51], v10 offset:48
	ds_read_b128 v[52:55], v11 offset:1536
	s_waitcnt lgkmcnt(2)
	v_fma_f64 v[12:13], v[20:21], v[24:25], v[12:13]
	v_fma_f64 v[24:25], -v[22:23], v[24:25], v[56:57]
	v_fma_f64 v[12:13], v[22:23], -v[26:27], v[12:13]
	v_fma_f64 v[20:21], v[20:21], -v[26:27], v[24:25]
	s_waitcnt lgkmcnt(0)
	v_fma_f64 v[12:13], v[52:53], v[48:49], v[12:13]
	v_fma_f64 v[24:25], -v[54:55], v[48:49], v[20:21]
	ds_read_b128 v[20:23], v10 offset:64
	v_fma_f64 v[12:13], v[54:55], -v[50:51], v[12:13]
	v_fma_f64 v[56:57], v[52:53], -v[50:51], v[24:25]
	ds_read_b128 v[24:27], v11 offset:2048
	ds_read_b128 v[48:51], v11 offset:2560
	ds_read_b128 v[52:55], v10 offset:80
	;; [unrolled: 14-line block ×3, first 2 shown]
	v_add_nc_u32_e32 v11, 0x1000, v11
	v_add_nc_u32_e32 v10, 0x80, v10
	s_waitcnt lgkmcnt(2)
	v_fma_f64 v[12:13], v[24:25], v[20:21], v[12:13]
	v_fma_f64 v[20:21], -v[26:27], v[20:21], v[56:57]
	v_fma_f64 v[12:13], v[26:27], -v[22:23], v[12:13]
	v_fma_f64 v[20:21], v[24:25], -v[22:23], v[20:21]
	s_waitcnt lgkmcnt(0)
	v_fma_f64 v[12:13], v[48:49], v[52:53], v[12:13]
	v_fma_f64 v[20:21], -v[50:51], v[52:53], v[20:21]
	v_fma_f64 v[22:23], v[50:51], -v[54:55], v[12:13]
	v_fma_f64 v[20:21], v[48:49], -v[54:55], v[20:21]
	s_cbranch_scc0 .LBB9_54
	s_branch .LBB9_14
.LBB9_55:                               ;   in Loop: Header=BB9_10 Depth=1
	v_mov_b32_e32 v20, 0
	v_mov_b32_e32 v22, 0
	;; [unrolled: 1-line block ×4, first 2 shown]
.LBB9_56:                               ;   in Loop: Header=BB9_10 Depth=1
	v_add_co_u32 v12, vcc_lo, v18, s7
	v_add_co_ci_u32_e64 v13, null, s34, v19, vcc_lo
	s_and_b32 vcc_lo, exec_lo, s28
	s_mov_b32 s1, -1
                                        ; implicit-def: $vgpr10_vgpr11
	s_cbranch_vccnz .LBB9_59
; %bb.57:                               ;   in Loop: Header=BB9_10 Depth=1
	s_andn2_b32 vcc_lo, exec_lo, s1
	s_cbranch_vccz .LBB9_60
.LBB9_58:                               ;   in Loop: Header=BB9_10 Depth=1
	v_cmp_gt_i64_e32 vcc_lo, s[22:23], v[18:19]
	s_and_b32 s2, s40, vcc_lo
	s_and_saveexec_b32 s1, s2
	s_cbranch_execz .LBB9_9
	s_branch .LBB9_61
.LBB9_59:                               ;   in Loop: Header=BB9_10 Depth=1
	v_mad_u64_u32 v[10:11], null, v12, s26, v[14:15]
	v_mul_lo_u32 v24, v12, s27
	v_mul_lo_u32 v25, v13, s26
	v_add3_u32 v11, v25, v11, v24
	s_cbranch_execnz .LBB9_58
.LBB9_60:                               ;   in Loop: Header=BB9_10 Depth=1
	v_add_co_u32 v10, vcc_lo, v12, v16
	v_add_co_ci_u32_e64 v11, null, v13, v17, vcc_lo
	v_cmp_gt_i64_e32 vcc_lo, s[22:23], v[18:19]
	s_and_b32 s2, s40, vcc_lo
	s_and_saveexec_b32 s1, s2
	s_cbranch_execz .LBB9_9
.LBB9_61:                               ;   in Loop: Header=BB9_10 Depth=1
	s_and_saveexec_b32 s2, s42
	s_xor_b32 s2, exec_lo, s2
	s_cbranch_execz .LBB9_63
; %bb.62:                               ;   in Loop: Header=BB9_10 Depth=1
	v_lshlrev_b64 v[10:11], 4, v[10:11]
	v_mul_f64 v[24:25], v[20:21], -v[4:5]
	v_mul_f64 v[20:21], v[2:3], v[20:21]
	v_add_co_u32 v18, vcc_lo, s24, v10
	v_add_co_ci_u32_e64 v19, null, s25, v11, vcc_lo
	global_load_dwordx4 v[10:13], v[18:19], off
	v_fma_f64 v[24:25], v[2:3], v[22:23], v[24:25]
	v_fma_f64 v[20:21], v[4:5], v[22:23], v[20:21]
	s_waitcnt vmcnt(0)
	v_fma_f64 v[22:23], v[6:7], v[10:11], v[24:25]
	v_fma_f64 v[20:21], v[8:9], v[10:11], v[20:21]
	v_fma_f64 v[10:11], -v[8:9], v[12:13], v[22:23]
	v_fma_f64 v[12:13], v[6:7], v[12:13], v[20:21]
                                        ; implicit-def: $vgpr20_vgpr21
                                        ; implicit-def: $vgpr22_vgpr23
	global_store_dwordx4 v[18:19], v[10:13], off
                                        ; implicit-def: $vgpr10_vgpr11
.LBB9_63:                               ;   in Loop: Header=BB9_10 Depth=1
	s_andn2_saveexec_b32 s2, s2
	s_cbranch_execz .LBB9_9
; %bb.64:                               ;   in Loop: Header=BB9_10 Depth=1
	v_mul_f64 v[12:13], v[20:21], -v[4:5]
	v_mul_f64 v[20:21], v[2:3], v[20:21]
	v_lshlrev_b64 v[10:11], 4, v[10:11]
	v_add_co_u32 v10, vcc_lo, s24, v10
	v_add_co_ci_u32_e64 v11, null, s25, v11, vcc_lo
	v_fma_f64 v[18:19], v[2:3], v[22:23], v[12:13]
	v_fma_f64 v[20:21], v[4:5], v[22:23], v[20:21]
	global_store_dwordx4 v[10:11], v[18:21], off
	s_branch .LBB9_9
.LBB9_65:
	s_endpgm
.LBB9_66:
                                        ; implicit-def: $sgpr30_sgpr31
	s_branch .LBB9_6
	.section	.rodata,"a",@progbits
	.p2align	6, 0x0
	.amdhsa_kernel _ZN9rocsparseL30bellmm_general_blockdim_kernelILi32ELi32E21rocsparse_complex_numIdElS2_S2_S2_EEv20rocsparse_operation_S3_20rocsparse_direction_T2_S5_NS_24const_host_device_scalarIT1_EES5_S5_PKS5_PKT3_PKT4_l16rocsparse_order_S8_PT5_lSH_21rocsparse_index_base_b
		.amdhsa_group_segment_fixed_size 32768
		.amdhsa_private_segment_fixed_size 0
		.amdhsa_kernarg_size 148
		.amdhsa_user_sgpr_count 6
		.amdhsa_user_sgpr_private_segment_buffer 1
		.amdhsa_user_sgpr_dispatch_ptr 0
		.amdhsa_user_sgpr_queue_ptr 0
		.amdhsa_user_sgpr_kernarg_segment_ptr 1
		.amdhsa_user_sgpr_dispatch_id 0
		.amdhsa_user_sgpr_flat_scratch_init 0
		.amdhsa_user_sgpr_private_segment_size 0
		.amdhsa_wavefront_size32 1
		.amdhsa_uses_dynamic_stack 0
		.amdhsa_system_sgpr_private_segment_wavefront_offset 0
		.amdhsa_system_sgpr_workgroup_id_x 1
		.amdhsa_system_sgpr_workgroup_id_y 1
		.amdhsa_system_sgpr_workgroup_id_z 0
		.amdhsa_system_sgpr_workgroup_info 0
		.amdhsa_system_vgpr_workitem_id 1
		.amdhsa_next_free_vgpr 64
		.amdhsa_next_free_sgpr 48
		.amdhsa_reserve_vcc 1
		.amdhsa_reserve_flat_scratch 0
		.amdhsa_float_round_mode_32 0
		.amdhsa_float_round_mode_16_64 0
		.amdhsa_float_denorm_mode_32 3
		.amdhsa_float_denorm_mode_16_64 3
		.amdhsa_dx10_clamp 1
		.amdhsa_ieee_mode 1
		.amdhsa_fp16_overflow 0
		.amdhsa_workgroup_processor_mode 1
		.amdhsa_memory_ordered 1
		.amdhsa_forward_progress 1
		.amdhsa_shared_vgpr_count 0
		.amdhsa_exception_fp_ieee_invalid_op 0
		.amdhsa_exception_fp_denorm_src 0
		.amdhsa_exception_fp_ieee_div_zero 0
		.amdhsa_exception_fp_ieee_overflow 0
		.amdhsa_exception_fp_ieee_underflow 0
		.amdhsa_exception_fp_ieee_inexact 0
		.amdhsa_exception_int_div_zero 0
	.end_amdhsa_kernel
	.section	.text._ZN9rocsparseL30bellmm_general_blockdim_kernelILi32ELi32E21rocsparse_complex_numIdElS2_S2_S2_EEv20rocsparse_operation_S3_20rocsparse_direction_T2_S5_NS_24const_host_device_scalarIT1_EES5_S5_PKS5_PKT3_PKT4_l16rocsparse_order_S8_PT5_lSH_21rocsparse_index_base_b,"axG",@progbits,_ZN9rocsparseL30bellmm_general_blockdim_kernelILi32ELi32E21rocsparse_complex_numIdElS2_S2_S2_EEv20rocsparse_operation_S3_20rocsparse_direction_T2_S5_NS_24const_host_device_scalarIT1_EES5_S5_PKS5_PKT3_PKT4_l16rocsparse_order_S8_PT5_lSH_21rocsparse_index_base_b,comdat
.Lfunc_end9:
	.size	_ZN9rocsparseL30bellmm_general_blockdim_kernelILi32ELi32E21rocsparse_complex_numIdElS2_S2_S2_EEv20rocsparse_operation_S3_20rocsparse_direction_T2_S5_NS_24const_host_device_scalarIT1_EES5_S5_PKS5_PKT3_PKT4_l16rocsparse_order_S8_PT5_lSH_21rocsparse_index_base_b, .Lfunc_end9-_ZN9rocsparseL30bellmm_general_blockdim_kernelILi32ELi32E21rocsparse_complex_numIdElS2_S2_S2_EEv20rocsparse_operation_S3_20rocsparse_direction_T2_S5_NS_24const_host_device_scalarIT1_EES5_S5_PKS5_PKT3_PKT4_l16rocsparse_order_S8_PT5_lSH_21rocsparse_index_base_b
                                        ; -- End function
	.set _ZN9rocsparseL30bellmm_general_blockdim_kernelILi32ELi32E21rocsparse_complex_numIdElS2_S2_S2_EEv20rocsparse_operation_S3_20rocsparse_direction_T2_S5_NS_24const_host_device_scalarIT1_EES5_S5_PKS5_PKT3_PKT4_l16rocsparse_order_S8_PT5_lSH_21rocsparse_index_base_b.num_vgpr, 64
	.set _ZN9rocsparseL30bellmm_general_blockdim_kernelILi32ELi32E21rocsparse_complex_numIdElS2_S2_S2_EEv20rocsparse_operation_S3_20rocsparse_direction_T2_S5_NS_24const_host_device_scalarIT1_EES5_S5_PKS5_PKT3_PKT4_l16rocsparse_order_S8_PT5_lSH_21rocsparse_index_base_b.num_agpr, 0
	.set _ZN9rocsparseL30bellmm_general_blockdim_kernelILi32ELi32E21rocsparse_complex_numIdElS2_S2_S2_EEv20rocsparse_operation_S3_20rocsparse_direction_T2_S5_NS_24const_host_device_scalarIT1_EES5_S5_PKS5_PKT3_PKT4_l16rocsparse_order_S8_PT5_lSH_21rocsparse_index_base_b.numbered_sgpr, 48
	.set _ZN9rocsparseL30bellmm_general_blockdim_kernelILi32ELi32E21rocsparse_complex_numIdElS2_S2_S2_EEv20rocsparse_operation_S3_20rocsparse_direction_T2_S5_NS_24const_host_device_scalarIT1_EES5_S5_PKS5_PKT3_PKT4_l16rocsparse_order_S8_PT5_lSH_21rocsparse_index_base_b.num_named_barrier, 0
	.set _ZN9rocsparseL30bellmm_general_blockdim_kernelILi32ELi32E21rocsparse_complex_numIdElS2_S2_S2_EEv20rocsparse_operation_S3_20rocsparse_direction_T2_S5_NS_24const_host_device_scalarIT1_EES5_S5_PKS5_PKT3_PKT4_l16rocsparse_order_S8_PT5_lSH_21rocsparse_index_base_b.private_seg_size, 0
	.set _ZN9rocsparseL30bellmm_general_blockdim_kernelILi32ELi32E21rocsparse_complex_numIdElS2_S2_S2_EEv20rocsparse_operation_S3_20rocsparse_direction_T2_S5_NS_24const_host_device_scalarIT1_EES5_S5_PKS5_PKT3_PKT4_l16rocsparse_order_S8_PT5_lSH_21rocsparse_index_base_b.uses_vcc, 1
	.set _ZN9rocsparseL30bellmm_general_blockdim_kernelILi32ELi32E21rocsparse_complex_numIdElS2_S2_S2_EEv20rocsparse_operation_S3_20rocsparse_direction_T2_S5_NS_24const_host_device_scalarIT1_EES5_S5_PKS5_PKT3_PKT4_l16rocsparse_order_S8_PT5_lSH_21rocsparse_index_base_b.uses_flat_scratch, 0
	.set _ZN9rocsparseL30bellmm_general_blockdim_kernelILi32ELi32E21rocsparse_complex_numIdElS2_S2_S2_EEv20rocsparse_operation_S3_20rocsparse_direction_T2_S5_NS_24const_host_device_scalarIT1_EES5_S5_PKS5_PKT3_PKT4_l16rocsparse_order_S8_PT5_lSH_21rocsparse_index_base_b.has_dyn_sized_stack, 0
	.set _ZN9rocsparseL30bellmm_general_blockdim_kernelILi32ELi32E21rocsparse_complex_numIdElS2_S2_S2_EEv20rocsparse_operation_S3_20rocsparse_direction_T2_S5_NS_24const_host_device_scalarIT1_EES5_S5_PKS5_PKT3_PKT4_l16rocsparse_order_S8_PT5_lSH_21rocsparse_index_base_b.has_recursion, 0
	.set _ZN9rocsparseL30bellmm_general_blockdim_kernelILi32ELi32E21rocsparse_complex_numIdElS2_S2_S2_EEv20rocsparse_operation_S3_20rocsparse_direction_T2_S5_NS_24const_host_device_scalarIT1_EES5_S5_PKS5_PKT3_PKT4_l16rocsparse_order_S8_PT5_lSH_21rocsparse_index_base_b.has_indirect_call, 0
	.section	.AMDGPU.csdata,"",@progbits
; Kernel info:
; codeLenInByte = 4504
; TotalNumSgprs: 50
; NumVgprs: 64
; ScratchSize: 0
; MemoryBound: 1
; FloatMode: 240
; IeeeMode: 1
; LDSByteSize: 32768 bytes/workgroup (compile time only)
; SGPRBlocks: 0
; VGPRBlocks: 7
; NumSGPRsForWavesPerEU: 50
; NumVGPRsForWavesPerEU: 64
; Occupancy: 16
; WaveLimiterHint : 1
; COMPUTE_PGM_RSRC2:SCRATCH_EN: 0
; COMPUTE_PGM_RSRC2:USER_SGPR: 6
; COMPUTE_PGM_RSRC2:TRAP_HANDLER: 0
; COMPUTE_PGM_RSRC2:TGID_X_EN: 1
; COMPUTE_PGM_RSRC2:TGID_Y_EN: 1
; COMPUTE_PGM_RSRC2:TGID_Z_EN: 0
; COMPUTE_PGM_RSRC2:TIDIG_COMP_CNT: 1
	.section	.AMDGPU.gpr_maximums,"",@progbits
	.set amdgpu.max_num_vgpr, 0
	.set amdgpu.max_num_agpr, 0
	.set amdgpu.max_num_sgpr, 0
	.section	.AMDGPU.csdata,"",@progbits
	.type	__hip_cuid_7e6af71cd27fd38b,@object ; @__hip_cuid_7e6af71cd27fd38b
	.section	.bss,"aw",@nobits
	.globl	__hip_cuid_7e6af71cd27fd38b
__hip_cuid_7e6af71cd27fd38b:
	.byte	0                               ; 0x0
	.size	__hip_cuid_7e6af71cd27fd38b, 1

	.ident	"AMD clang version 22.0.0git (https://github.com/RadeonOpenCompute/llvm-project roc-7.2.4 26084 f58b06dce1f9c15707c5f808fd002e18c2accf7e)"
	.section	".note.GNU-stack","",@progbits
	.addrsig
	.addrsig_sym __hip_cuid_7e6af71cd27fd38b
	.amdgpu_metadata
---
amdhsa.kernels:
  - .args:
      - .offset:         0
        .size:           4
        .value_kind:     by_value
      - .offset:         4
        .size:           4
        .value_kind:     by_value
      - .offset:         8
        .size:           4
        .value_kind:     by_value
      - .offset:         12
        .size:           4
        .value_kind:     by_value
      - .offset:         16
        .size:           4
        .value_kind:     by_value
      - .offset:         24
        .size:           8
        .value_kind:     by_value
      - .offset:         32
        .size:           4
        .value_kind:     by_value
      - .offset:         36
        .size:           4
        .value_kind:     by_value
      - .actual_access:  read_only
        .address_space:  global
        .offset:         40
        .size:           8
        .value_kind:     global_buffer
      - .actual_access:  read_only
        .address_space:  global
        .offset:         48
        .size:           8
        .value_kind:     global_buffer
      - .actual_access:  read_only
        .address_space:  global
        .offset:         56
        .size:           8
        .value_kind:     global_buffer
      - .offset:         64
        .size:           8
        .value_kind:     by_value
      - .offset:         72
        .size:           4
        .value_kind:     by_value
      - .offset:         80
        .size:           8
        .value_kind:     by_value
      - .address_space:  global
        .offset:         88
        .size:           8
        .value_kind:     global_buffer
      - .offset:         96
        .size:           8
        .value_kind:     by_value
      - .offset:         104
        .size:           4
        .value_kind:     by_value
      - .offset:         108
        .size:           4
        .value_kind:     by_value
      - .offset:         112
        .size:           1
        .value_kind:     by_value
    .group_segment_fixed_size: 8192
    .kernarg_segment_align: 8
    .kernarg_segment_size: 116
    .language:       OpenCL C
    .language_version:
      - 2
      - 0
    .max_flat_workgroup_size: 1024
    .name:           _ZN9rocsparseL30bellmm_general_blockdim_kernelILi32ELi32EiiiiiEEv20rocsparse_operation_S1_20rocsparse_direction_T2_S3_NS_24const_host_device_scalarIT1_EES3_S3_PKS3_PKT3_PKT4_l16rocsparse_order_S6_PT5_lSF_21rocsparse_index_base_b
    .private_segment_fixed_size: 0
    .sgpr_count:     40
    .sgpr_spill_count: 0
    .symbol:         _ZN9rocsparseL30bellmm_general_blockdim_kernelILi32ELi32EiiiiiEEv20rocsparse_operation_S1_20rocsparse_direction_T2_S3_NS_24const_host_device_scalarIT1_EES3_S3_PKS3_PKT3_PKT4_l16rocsparse_order_S6_PT5_lSF_21rocsparse_index_base_b.kd
    .uniform_work_group_size: 1
    .uses_dynamic_stack: false
    .vgpr_count:     51
    .vgpr_spill_count: 0
    .wavefront_size: 32
    .workgroup_processor_mode: 1
  - .args:
      - .offset:         0
        .size:           4
        .value_kind:     by_value
      - .offset:         4
        .size:           4
        .value_kind:     by_value
      - .offset:         8
        .size:           4
        .value_kind:     by_value
      - .offset:         16
        .size:           8
        .value_kind:     by_value
      - .offset:         24
        .size:           8
        .value_kind:     by_value
      - .offset:         32
        .size:           8
        .value_kind:     by_value
      - .offset:         40
        .size:           8
        .value_kind:     by_value
      - .offset:         48
        .size:           8
        .value_kind:     by_value
      - .actual_access:  read_only
        .address_space:  global
        .offset:         56
        .size:           8
        .value_kind:     global_buffer
      - .actual_access:  read_only
        .address_space:  global
        .offset:         64
        .size:           8
        .value_kind:     global_buffer
      - .actual_access:  read_only
        .address_space:  global
        .offset:         72
        .size:           8
        .value_kind:     global_buffer
      - .offset:         80
        .size:           8
        .value_kind:     by_value
      - .offset:         88
        .size:           4
        .value_kind:     by_value
      - .offset:         96
        .size:           8
        .value_kind:     by_value
      - .address_space:  global
        .offset:         104
        .size:           8
        .value_kind:     global_buffer
      - .offset:         112
        .size:           8
        .value_kind:     by_value
      - .offset:         120
        .size:           4
        .value_kind:     by_value
      - .offset:         124
        .size:           4
        .value_kind:     by_value
      - .offset:         128
        .size:           1
        .value_kind:     by_value
    .group_segment_fixed_size: 8192
    .kernarg_segment_align: 8
    .kernarg_segment_size: 132
    .language:       OpenCL C
    .language_version:
      - 2
      - 0
    .max_flat_workgroup_size: 1024
    .name:           _ZN9rocsparseL30bellmm_general_blockdim_kernelILi32ELi32EiliiiEEv20rocsparse_operation_S1_20rocsparse_direction_T2_S3_NS_24const_host_device_scalarIT1_EES3_S3_PKS3_PKT3_PKT4_l16rocsparse_order_S6_PT5_lSF_21rocsparse_index_base_b
    .private_segment_fixed_size: 0
    .sgpr_count:     48
    .sgpr_spill_count: 0
    .symbol:         _ZN9rocsparseL30bellmm_general_blockdim_kernelILi32ELi32EiliiiEEv20rocsparse_operation_S1_20rocsparse_direction_T2_S3_NS_24const_host_device_scalarIT1_EES3_S3_PKS3_PKT3_PKT4_l16rocsparse_order_S6_PT5_lSF_21rocsparse_index_base_b.kd
    .uniform_work_group_size: 1
    .uses_dynamic_stack: false
    .vgpr_count:     62
    .vgpr_spill_count: 0
    .wavefront_size: 32
    .workgroup_processor_mode: 1
  - .args:
      - .offset:         0
        .size:           4
        .value_kind:     by_value
      - .offset:         4
        .size:           4
        .value_kind:     by_value
      - .offset:         8
        .size:           4
        .value_kind:     by_value
      - .offset:         12
        .size:           4
        .value_kind:     by_value
      - .offset:         16
        .size:           4
        .value_kind:     by_value
      - .offset:         24
        .size:           8
        .value_kind:     by_value
      - .offset:         32
        .size:           4
        .value_kind:     by_value
      - .offset:         36
        .size:           4
        .value_kind:     by_value
      - .actual_access:  read_only
        .address_space:  global
        .offset:         40
        .size:           8
        .value_kind:     global_buffer
      - .actual_access:  read_only
        .address_space:  global
        .offset:         48
        .size:           8
        .value_kind:     global_buffer
      - .actual_access:  read_only
        .address_space:  global
        .offset:         56
        .size:           8
        .value_kind:     global_buffer
      - .offset:         64
        .size:           8
        .value_kind:     by_value
      - .offset:         72
        .size:           4
        .value_kind:     by_value
      - .offset:         80
        .size:           8
        .value_kind:     by_value
      - .address_space:  global
        .offset:         88
        .size:           8
        .value_kind:     global_buffer
      - .offset:         96
        .size:           8
        .value_kind:     by_value
      - .offset:         104
        .size:           4
        .value_kind:     by_value
      - .offset:         108
        .size:           4
        .value_kind:     by_value
      - .offset:         112
        .size:           1
        .value_kind:     by_value
    .group_segment_fixed_size: 8192
    .kernarg_segment_align: 8
    .kernarg_segment_size: 116
    .language:       OpenCL C
    .language_version:
      - 2
      - 0
    .max_flat_workgroup_size: 1024
    .name:           _ZN9rocsparseL30bellmm_general_blockdim_kernelILi32ELi32EfifffEEv20rocsparse_operation_S1_20rocsparse_direction_T2_S3_NS_24const_host_device_scalarIT1_EES3_S3_PKS3_PKT3_PKT4_l16rocsparse_order_S6_PT5_lSF_21rocsparse_index_base_b
    .private_segment_fixed_size: 0
    .sgpr_count:     40
    .sgpr_spill_count: 0
    .symbol:         _ZN9rocsparseL30bellmm_general_blockdim_kernelILi32ELi32EfifffEEv20rocsparse_operation_S1_20rocsparse_direction_T2_S3_NS_24const_host_device_scalarIT1_EES3_S3_PKS3_PKT3_PKT4_l16rocsparse_order_S6_PT5_lSF_21rocsparse_index_base_b.kd
    .uniform_work_group_size: 1
    .uses_dynamic_stack: false
    .vgpr_count:     40
    .vgpr_spill_count: 0
    .wavefront_size: 32
    .workgroup_processor_mode: 1
  - .args:
      - .offset:         0
        .size:           4
        .value_kind:     by_value
      - .offset:         4
        .size:           4
        .value_kind:     by_value
      - .offset:         8
        .size:           4
        .value_kind:     by_value
      - .offset:         16
        .size:           8
        .value_kind:     by_value
      - .offset:         24
        .size:           8
        .value_kind:     by_value
      - .offset:         32
        .size:           8
        .value_kind:     by_value
      - .offset:         40
        .size:           8
        .value_kind:     by_value
      - .offset:         48
        .size:           8
        .value_kind:     by_value
      - .actual_access:  read_only
        .address_space:  global
        .offset:         56
        .size:           8
        .value_kind:     global_buffer
      - .actual_access:  read_only
        .address_space:  global
        .offset:         64
        .size:           8
        .value_kind:     global_buffer
      - .actual_access:  read_only
        .address_space:  global
        .offset:         72
        .size:           8
        .value_kind:     global_buffer
      - .offset:         80
        .size:           8
        .value_kind:     by_value
      - .offset:         88
        .size:           4
        .value_kind:     by_value
      - .offset:         96
        .size:           8
        .value_kind:     by_value
      - .address_space:  global
        .offset:         104
        .size:           8
        .value_kind:     global_buffer
      - .offset:         112
        .size:           8
        .value_kind:     by_value
      - .offset:         120
        .size:           4
        .value_kind:     by_value
      - .offset:         124
        .size:           4
        .value_kind:     by_value
      - .offset:         128
        .size:           1
        .value_kind:     by_value
    .group_segment_fixed_size: 8192
    .kernarg_segment_align: 8
    .kernarg_segment_size: 132
    .language:       OpenCL C
    .language_version:
      - 2
      - 0
    .max_flat_workgroup_size: 1024
    .name:           _ZN9rocsparseL30bellmm_general_blockdim_kernelILi32ELi32EflfffEEv20rocsparse_operation_S1_20rocsparse_direction_T2_S3_NS_24const_host_device_scalarIT1_EES3_S3_PKS3_PKT3_PKT4_l16rocsparse_order_S6_PT5_lSF_21rocsparse_index_base_b
    .private_segment_fixed_size: 0
    .sgpr_count:     48
    .sgpr_spill_count: 0
    .symbol:         _ZN9rocsparseL30bellmm_general_blockdim_kernelILi32ELi32EflfffEEv20rocsparse_operation_S1_20rocsparse_direction_T2_S3_NS_24const_host_device_scalarIT1_EES3_S3_PKS3_PKT3_PKT4_l16rocsparse_order_S6_PT5_lSF_21rocsparse_index_base_b.kd
    .uniform_work_group_size: 1
    .uses_dynamic_stack: false
    .vgpr_count:     51
    .vgpr_spill_count: 0
    .wavefront_size: 32
    .workgroup_processor_mode: 1
  - .args:
      - .offset:         0
        .size:           4
        .value_kind:     by_value
      - .offset:         4
        .size:           4
        .value_kind:     by_value
      - .offset:         8
        .size:           4
        .value_kind:     by_value
      - .offset:         12
        .size:           4
        .value_kind:     by_value
      - .offset:         16
        .size:           4
        .value_kind:     by_value
      - .offset:         24
        .size:           8
        .value_kind:     by_value
      - .offset:         32
        .size:           4
        .value_kind:     by_value
      - .offset:         36
        .size:           4
        .value_kind:     by_value
      - .actual_access:  read_only
        .address_space:  global
        .offset:         40
        .size:           8
        .value_kind:     global_buffer
      - .actual_access:  read_only
        .address_space:  global
        .offset:         48
        .size:           8
        .value_kind:     global_buffer
      - .actual_access:  read_only
        .address_space:  global
        .offset:         56
        .size:           8
        .value_kind:     global_buffer
      - .offset:         64
        .size:           8
        .value_kind:     by_value
      - .offset:         72
        .size:           4
        .value_kind:     by_value
      - .offset:         80
        .size:           8
        .value_kind:     by_value
      - .address_space:  global
        .offset:         88
        .size:           8
        .value_kind:     global_buffer
      - .offset:         96
        .size:           8
        .value_kind:     by_value
      - .offset:         104
        .size:           4
        .value_kind:     by_value
      - .offset:         108
        .size:           4
        .value_kind:     by_value
      - .offset:         112
        .size:           1
        .value_kind:     by_value
    .group_segment_fixed_size: 16384
    .kernarg_segment_align: 8
    .kernarg_segment_size: 116
    .language:       OpenCL C
    .language_version:
      - 2
      - 0
    .max_flat_workgroup_size: 1024
    .name:           _ZN9rocsparseL30bellmm_general_blockdim_kernelILi32ELi32EdidddEEv20rocsparse_operation_S1_20rocsparse_direction_T2_S3_NS_24const_host_device_scalarIT1_EES3_S3_PKS3_PKT3_PKT4_l16rocsparse_order_S6_PT5_lSF_21rocsparse_index_base_b
    .private_segment_fixed_size: 0
    .sgpr_count:     38
    .sgpr_spill_count: 0
    .symbol:         _ZN9rocsparseL30bellmm_general_blockdim_kernelILi32ELi32EdidddEEv20rocsparse_operation_S1_20rocsparse_direction_T2_S3_NS_24const_host_device_scalarIT1_EES3_S3_PKS3_PKT3_PKT4_l16rocsparse_order_S6_PT5_lSF_21rocsparse_index_base_b.kd
    .uniform_work_group_size: 1
    .uses_dynamic_stack: false
    .vgpr_count:     46
    .vgpr_spill_count: 0
    .wavefront_size: 32
    .workgroup_processor_mode: 1
  - .args:
      - .offset:         0
        .size:           4
        .value_kind:     by_value
      - .offset:         4
        .size:           4
        .value_kind:     by_value
      - .offset:         8
        .size:           4
        .value_kind:     by_value
      - .offset:         16
        .size:           8
        .value_kind:     by_value
      - .offset:         24
        .size:           8
        .value_kind:     by_value
      - .offset:         32
        .size:           8
        .value_kind:     by_value
      - .offset:         40
        .size:           8
        .value_kind:     by_value
      - .offset:         48
        .size:           8
        .value_kind:     by_value
      - .actual_access:  read_only
        .address_space:  global
        .offset:         56
        .size:           8
        .value_kind:     global_buffer
      - .actual_access:  read_only
        .address_space:  global
        .offset:         64
        .size:           8
        .value_kind:     global_buffer
      - .actual_access:  read_only
        .address_space:  global
        .offset:         72
        .size:           8
        .value_kind:     global_buffer
      - .offset:         80
        .size:           8
        .value_kind:     by_value
      - .offset:         88
        .size:           4
        .value_kind:     by_value
      - .offset:         96
        .size:           8
        .value_kind:     by_value
      - .address_space:  global
        .offset:         104
        .size:           8
        .value_kind:     global_buffer
      - .offset:         112
        .size:           8
        .value_kind:     by_value
      - .offset:         120
        .size:           4
        .value_kind:     by_value
      - .offset:         124
        .size:           4
        .value_kind:     by_value
      - .offset:         128
        .size:           1
        .value_kind:     by_value
    .group_segment_fixed_size: 16384
    .kernarg_segment_align: 8
    .kernarg_segment_size: 132
    .language:       OpenCL C
    .language_version:
      - 2
      - 0
    .max_flat_workgroup_size: 1024
    .name:           _ZN9rocsparseL30bellmm_general_blockdim_kernelILi32ELi32EdldddEEv20rocsparse_operation_S1_20rocsparse_direction_T2_S3_NS_24const_host_device_scalarIT1_EES3_S3_PKS3_PKT3_PKT4_l16rocsparse_order_S6_PT5_lSF_21rocsparse_index_base_b
    .private_segment_fixed_size: 0
    .sgpr_count:     46
    .sgpr_spill_count: 0
    .symbol:         _ZN9rocsparseL30bellmm_general_blockdim_kernelILi32ELi32EdldddEEv20rocsparse_operation_S1_20rocsparse_direction_T2_S3_NS_24const_host_device_scalarIT1_EES3_S3_PKS3_PKT3_PKT4_l16rocsparse_order_S6_PT5_lSF_21rocsparse_index_base_b.kd
    .uniform_work_group_size: 1
    .uses_dynamic_stack: false
    .vgpr_count:     56
    .vgpr_spill_count: 0
    .wavefront_size: 32
    .workgroup_processor_mode: 1
  - .args:
      - .offset:         0
        .size:           4
        .value_kind:     by_value
      - .offset:         4
        .size:           4
        .value_kind:     by_value
      - .offset:         8
        .size:           4
        .value_kind:     by_value
      - .offset:         12
        .size:           4
        .value_kind:     by_value
      - .offset:         16
        .size:           4
        .value_kind:     by_value
      - .offset:         24
        .size:           8
        .value_kind:     by_value
      - .offset:         32
        .size:           4
        .value_kind:     by_value
      - .offset:         36
        .size:           4
        .value_kind:     by_value
      - .actual_access:  read_only
        .address_space:  global
        .offset:         40
        .size:           8
        .value_kind:     global_buffer
      - .actual_access:  read_only
        .address_space:  global
        .offset:         48
        .size:           8
        .value_kind:     global_buffer
      - .actual_access:  read_only
        .address_space:  global
        .offset:         56
        .size:           8
        .value_kind:     global_buffer
      - .offset:         64
        .size:           8
        .value_kind:     by_value
      - .offset:         72
        .size:           4
        .value_kind:     by_value
      - .offset:         80
        .size:           8
        .value_kind:     by_value
      - .address_space:  global
        .offset:         88
        .size:           8
        .value_kind:     global_buffer
      - .offset:         96
        .size:           8
        .value_kind:     by_value
      - .offset:         104
        .size:           4
        .value_kind:     by_value
      - .offset:         108
        .size:           4
        .value_kind:     by_value
      - .offset:         112
        .size:           1
        .value_kind:     by_value
    .group_segment_fixed_size: 16384
    .kernarg_segment_align: 8
    .kernarg_segment_size: 116
    .language:       OpenCL C
    .language_version:
      - 2
      - 0
    .max_flat_workgroup_size: 1024
    .name:           _ZN9rocsparseL30bellmm_general_blockdim_kernelILi32ELi32E21rocsparse_complex_numIfEiS2_S2_S2_EEv20rocsparse_operation_S3_20rocsparse_direction_T2_S5_NS_24const_host_device_scalarIT1_EES5_S5_PKS5_PKT3_PKT4_l16rocsparse_order_S8_PT5_lSH_21rocsparse_index_base_b
    .private_segment_fixed_size: 0
    .sgpr_count:     41
    .sgpr_spill_count: 0
    .symbol:         _ZN9rocsparseL30bellmm_general_blockdim_kernelILi32ELi32E21rocsparse_complex_numIfEiS2_S2_S2_EEv20rocsparse_operation_S3_20rocsparse_direction_T2_S5_NS_24const_host_device_scalarIT1_EES5_S5_PKS5_PKT3_PKT4_l16rocsparse_order_S8_PT5_lSH_21rocsparse_index_base_b.kd
    .uniform_work_group_size: 1
    .uses_dynamic_stack: false
    .vgpr_count:     62
    .vgpr_spill_count: 0
    .wavefront_size: 32
    .workgroup_processor_mode: 1
  - .args:
      - .offset:         0
        .size:           4
        .value_kind:     by_value
      - .offset:         4
        .size:           4
        .value_kind:     by_value
      - .offset:         8
        .size:           4
        .value_kind:     by_value
      - .offset:         16
        .size:           8
        .value_kind:     by_value
      - .offset:         24
        .size:           8
        .value_kind:     by_value
      - .offset:         32
        .size:           8
        .value_kind:     by_value
      - .offset:         40
        .size:           8
        .value_kind:     by_value
      - .offset:         48
        .size:           8
        .value_kind:     by_value
      - .actual_access:  read_only
        .address_space:  global
        .offset:         56
        .size:           8
        .value_kind:     global_buffer
      - .actual_access:  read_only
        .address_space:  global
        .offset:         64
        .size:           8
        .value_kind:     global_buffer
      - .actual_access:  read_only
        .address_space:  global
        .offset:         72
        .size:           8
        .value_kind:     global_buffer
      - .offset:         80
        .size:           8
        .value_kind:     by_value
      - .offset:         88
        .size:           4
        .value_kind:     by_value
      - .offset:         96
        .size:           8
        .value_kind:     by_value
      - .address_space:  global
        .offset:         104
        .size:           8
        .value_kind:     global_buffer
      - .offset:         112
        .size:           8
        .value_kind:     by_value
      - .offset:         120
        .size:           4
        .value_kind:     by_value
      - .offset:         124
        .size:           4
        .value_kind:     by_value
      - .offset:         128
        .size:           1
        .value_kind:     by_value
    .group_segment_fixed_size: 16384
    .kernarg_segment_align: 8
    .kernarg_segment_size: 132
    .language:       OpenCL C
    .language_version:
      - 2
      - 0
    .max_flat_workgroup_size: 1024
    .name:           _ZN9rocsparseL30bellmm_general_blockdim_kernelILi32ELi32E21rocsparse_complex_numIfElS2_S2_S2_EEv20rocsparse_operation_S3_20rocsparse_direction_T2_S5_NS_24const_host_device_scalarIT1_EES5_S5_PKS5_PKT3_PKT4_l16rocsparse_order_S8_PT5_lSH_21rocsparse_index_base_b
    .private_segment_fixed_size: 0
    .sgpr_count:     55
    .sgpr_spill_count: 0
    .symbol:         _ZN9rocsparseL30bellmm_general_blockdim_kernelILi32ELi32E21rocsparse_complex_numIfElS2_S2_S2_EEv20rocsparse_operation_S3_20rocsparse_direction_T2_S5_NS_24const_host_device_scalarIT1_EES5_S5_PKS5_PKT3_PKT4_l16rocsparse_order_S8_PT5_lSH_21rocsparse_index_base_b.kd
    .uniform_work_group_size: 1
    .uses_dynamic_stack: false
    .vgpr_count:     68
    .vgpr_spill_count: 0
    .wavefront_size: 32
    .workgroup_processor_mode: 1
  - .args:
      - .offset:         0
        .size:           4
        .value_kind:     by_value
      - .offset:         4
        .size:           4
        .value_kind:     by_value
      - .offset:         8
        .size:           4
        .value_kind:     by_value
      - .offset:         12
        .size:           4
        .value_kind:     by_value
      - .offset:         16
        .size:           4
        .value_kind:     by_value
      - .offset:         24
        .size:           16
        .value_kind:     by_value
      - .offset:         40
        .size:           4
        .value_kind:     by_value
      - .offset:         44
        .size:           4
        .value_kind:     by_value
      - .actual_access:  read_only
        .address_space:  global
        .offset:         48
        .size:           8
        .value_kind:     global_buffer
      - .actual_access:  read_only
        .address_space:  global
        .offset:         56
        .size:           8
        .value_kind:     global_buffer
      - .actual_access:  read_only
        .address_space:  global
        .offset:         64
        .size:           8
        .value_kind:     global_buffer
      - .offset:         72
        .size:           8
        .value_kind:     by_value
      - .offset:         80
        .size:           4
        .value_kind:     by_value
      - .offset:         88
        .size:           16
        .value_kind:     by_value
      - .address_space:  global
        .offset:         104
        .size:           8
        .value_kind:     global_buffer
      - .offset:         112
        .size:           8
        .value_kind:     by_value
      - .offset:         120
        .size:           4
        .value_kind:     by_value
      - .offset:         124
        .size:           4
        .value_kind:     by_value
      - .offset:         128
        .size:           1
        .value_kind:     by_value
    .group_segment_fixed_size: 32768
    .kernarg_segment_align: 8
    .kernarg_segment_size: 132
    .language:       OpenCL C
    .language_version:
      - 2
      - 0
    .max_flat_workgroup_size: 1024
    .name:           _ZN9rocsparseL30bellmm_general_blockdim_kernelILi32ELi32E21rocsparse_complex_numIdEiS2_S2_S2_EEv20rocsparse_operation_S3_20rocsparse_direction_T2_S5_NS_24const_host_device_scalarIT1_EES5_S5_PKS5_PKT3_PKT4_l16rocsparse_order_S8_PT5_lSH_21rocsparse_index_base_b
    .private_segment_fixed_size: 0
    .sgpr_count:     40
    .sgpr_spill_count: 0
    .symbol:         _ZN9rocsparseL30bellmm_general_blockdim_kernelILi32ELi32E21rocsparse_complex_numIdEiS2_S2_S2_EEv20rocsparse_operation_S3_20rocsparse_direction_T2_S5_NS_24const_host_device_scalarIT1_EES5_S5_PKS5_PKT3_PKT4_l16rocsparse_order_S8_PT5_lSH_21rocsparse_index_base_b.kd
    .uniform_work_group_size: 1
    .uses_dynamic_stack: false
    .vgpr_count:     53
    .vgpr_spill_count: 0
    .wavefront_size: 32
    .workgroup_processor_mode: 1
  - .args:
      - .offset:         0
        .size:           4
        .value_kind:     by_value
      - .offset:         4
        .size:           4
        .value_kind:     by_value
      - .offset:         8
        .size:           4
        .value_kind:     by_value
      - .offset:         16
        .size:           8
        .value_kind:     by_value
      - .offset:         24
        .size:           8
        .value_kind:     by_value
      - .offset:         32
        .size:           16
        .value_kind:     by_value
      - .offset:         48
        .size:           8
        .value_kind:     by_value
      - .offset:         56
        .size:           8
        .value_kind:     by_value
      - .actual_access:  read_only
        .address_space:  global
        .offset:         64
        .size:           8
        .value_kind:     global_buffer
      - .actual_access:  read_only
        .address_space:  global
        .offset:         72
        .size:           8
        .value_kind:     global_buffer
      - .actual_access:  read_only
        .address_space:  global
        .offset:         80
        .size:           8
        .value_kind:     global_buffer
      - .offset:         88
        .size:           8
        .value_kind:     by_value
      - .offset:         96
        .size:           4
        .value_kind:     by_value
      - .offset:         104
        .size:           16
        .value_kind:     by_value
      - .address_space:  global
        .offset:         120
        .size:           8
        .value_kind:     global_buffer
      - .offset:         128
        .size:           8
        .value_kind:     by_value
      - .offset:         136
        .size:           4
        .value_kind:     by_value
      - .offset:         140
        .size:           4
        .value_kind:     by_value
      - .offset:         144
        .size:           1
        .value_kind:     by_value
    .group_segment_fixed_size: 32768
    .kernarg_segment_align: 8
    .kernarg_segment_size: 148
    .language:       OpenCL C
    .language_version:
      - 2
      - 0
    .max_flat_workgroup_size: 1024
    .name:           _ZN9rocsparseL30bellmm_general_blockdim_kernelILi32ELi32E21rocsparse_complex_numIdElS2_S2_S2_EEv20rocsparse_operation_S3_20rocsparse_direction_T2_S5_NS_24const_host_device_scalarIT1_EES5_S5_PKS5_PKT3_PKT4_l16rocsparse_order_S8_PT5_lSH_21rocsparse_index_base_b
    .private_segment_fixed_size: 0
    .sgpr_count:     50
    .sgpr_spill_count: 0
    .symbol:         _ZN9rocsparseL30bellmm_general_blockdim_kernelILi32ELi32E21rocsparse_complex_numIdElS2_S2_S2_EEv20rocsparse_operation_S3_20rocsparse_direction_T2_S5_NS_24const_host_device_scalarIT1_EES5_S5_PKS5_PKT3_PKT4_l16rocsparse_order_S8_PT5_lSH_21rocsparse_index_base_b.kd
    .uniform_work_group_size: 1
    .uses_dynamic_stack: false
    .vgpr_count:     64
    .vgpr_spill_count: 0
    .wavefront_size: 32
    .workgroup_processor_mode: 1
amdhsa.target:   amdgcn-amd-amdhsa--gfx1030
amdhsa.version:
  - 1
  - 2
...

	.end_amdgpu_metadata
